;; amdgpu-corpus repo=ROCm/rocFFT kind=compiled arch=gfx1030 opt=O3
	.text
	.amdgcn_target "amdgcn-amd-amdhsa--gfx1030"
	.amdhsa_code_object_version 6
	.protected	bluestein_single_back_len238_dim1_sp_op_CI_CI ; -- Begin function bluestein_single_back_len238_dim1_sp_op_CI_CI
	.globl	bluestein_single_back_len238_dim1_sp_op_CI_CI
	.p2align	8
	.type	bluestein_single_back_len238_dim1_sp_op_CI_CI,@function
bluestein_single_back_len238_dim1_sp_op_CI_CI: ; @bluestein_single_back_len238_dim1_sp_op_CI_CI
; %bb.0:
	s_load_dwordx4 s[0:3], s[4:5], 0x28
	v_mul_u32_u24_e32 v1, 0xf10, v0
	v_lshrrev_b32_e32 v1, 16, v1
	v_mad_u64_u32 v[44:45], null, s6, 3, v[1:2]
	v_mov_b32_e32 v45, 0
	s_waitcnt lgkmcnt(0)
	v_cmp_gt_u64_e32 vcc_lo, s[0:1], v[44:45]
	s_and_saveexec_b32 s0, vcc_lo
	s_cbranch_execz .LBB0_15
; %bb.1:
	v_mul_hi_u32 v2, 0xaaaaaaab, v44
	v_mul_lo_u16 v1, v1, 17
	s_clause 0x1
	s_load_dwordx2 s[12:13], s[4:5], 0x0
	s_load_dwordx2 s[14:15], s[4:5], 0x38
	v_sub_nc_u16 v0, v0, v1
	v_lshrrev_b32_e32 v2, 1, v2
	v_and_b32_e32 v83, 0xffff, v0
	v_cmp_gt_u16_e32 vcc_lo, 14, v0
	v_lshl_add_u32 v2, v2, 1, v2
	v_lshlrev_b32_e32 v80, 3, v83
	v_or_b32_e32 v81, 0x70, v83
	v_sub_nc_u32_e32 v1, v44, v2
	v_or_b32_e32 v79, 0xe0, v83
	v_mul_u32_u24_e32 v82, 0xee, v1
	v_lshlrev_b32_e32 v84, 3, v82
	s_and_saveexec_b32 s1, vcc_lo
	s_cbranch_execz .LBB0_3
; %bb.2:
	s_load_dwordx2 s[6:7], s[4:5], 0x18
	s_waitcnt lgkmcnt(0)
	global_load_dwordx2 v[4:5], v80, s[12:13]
	s_load_dwordx4 s[8:11], s[6:7], 0x0
	s_waitcnt lgkmcnt(0)
	v_mad_u64_u32 v[0:1], null, s10, v44, 0
	v_mad_u64_u32 v[2:3], null, s8, v83, 0
	;; [unrolled: 1-line block ×3, first 2 shown]
	s_mul_i32 s0, s9, 0x70
	s_mul_hi_u32 s6, s8, 0x70
	s_mul_i32 s7, s8, 0x70
	s_add_i32 s6, s6, s0
	v_mad_u64_u32 v[6:7], null, s11, v44, v[1:2]
	global_load_dwordx2 v[7:8], v80, s[12:13] offset:896
	v_mov_b32_e32 v1, v6
	v_lshlrev_b64 v[0:1], 3, v[0:1]
	v_add_co_u32 v26, s0, s2, v0
	v_add_co_ci_u32_e64 v27, s0, s3, v1, s0
	s_waitcnt vmcnt(1)
	v_mad_u64_u32 v[9:10], null, s9, v83, v[3:4]
	v_mad_u64_u32 v[10:11], null, s8, v81, 0
	v_mov_b32_e32 v3, v9
	v_mov_b32_e32 v9, v13
	;; [unrolled: 1-line block ×3, first 2 shown]
	v_lshlrev_b64 v[2:3], 3, v[2:3]
	v_mad_u64_u32 v[13:14], null, s9, v79, v[9:10]
	s_waitcnt vmcnt(0)
	v_mad_u64_u32 v[0:1], null, s9, v81, v[6:7]
	v_add_co_u32 v1, s0, v26, v2
	v_add_co_ci_u32_e64 v2, s0, v27, v3, s0
	v_add_co_u32 v14, s0, v1, s7
	v_add_co_ci_u32_e64 v15, s0, s6, v2, s0
	v_mov_b32_e32 v11, v0
	v_add_co_u32 v16, s0, v14, s7
	v_add_co_ci_u32_e64 v17, s0, s6, v15, s0
	v_lshlrev_b64 v[9:10], 3, v[10:11]
	v_add_co_u32 v18, s0, v16, s7
	v_add_co_ci_u32_e64 v19, s0, s6, v17, s0
	v_lshlrev_b64 v[11:12], 3, v[12:13]
	v_add_co_u32 v20, s0, v18, s7
	v_add_co_ci_u32_e64 v21, s0, s6, v19, s0
	v_add_co_u32 v22, s0, v20, s7
	v_add_co_ci_u32_e64 v23, s0, s6, v21, s0
	;; [unrolled: 2-line block ×6, first 2 shown]
	global_load_dwordx2 v[0:1], v[1:2], off
	global_load_dwordx2 v[2:3], v80, s[12:13] offset:1792
	s_clause 0x2
	global_load_dwordx2 v[9:10], v[9:10], off
	global_load_dwordx2 v[11:12], v[11:12], off
	;; [unrolled: 1-line block ×3, first 2 shown]
	s_clause 0x2
	global_load_dwordx2 v[30:31], v80, s[12:13] offset:112
	global_load_dwordx2 v[32:33], v80, s[12:13] offset:224
	;; [unrolled: 1-line block ×3, first 2 shown]
	global_load_dwordx2 v[15:16], v[16:17], off
	s_clause 0x3
	global_load_dwordx2 v[36:37], v80, s[12:13] offset:448
	global_load_dwordx2 v[38:39], v80, s[12:13] offset:560
	;; [unrolled: 1-line block ×4, first 2 shown]
	s_clause 0x1
	global_load_dwordx2 v[17:18], v[18:19], off
	global_load_dwordx2 v[19:20], v[20:21], off
	v_mad_u64_u32 v[28:29], null, 0xe0, s8, v[26:27]
	v_mov_b32_e32 v6, v29
	v_add_co_u32 v56, s0, v28, s7
	v_mad_u64_u32 v[45:46], null, 0xe0, s9, v[6:7]
	s_clause 0x4
	global_load_dwordx2 v[46:47], v80, s[12:13] offset:1008
	global_load_dwordx2 v[48:49], v80, s[12:13] offset:1120
	;; [unrolled: 1-line block ×5, first 2 shown]
	global_load_dwordx2 v[21:22], v[22:23], off
	global_load_dwordx2 v[23:24], v[24:25], off
	;; [unrolled: 1-line block ×3, first 2 shown]
	v_mov_b32_e32 v29, v45
	v_add_nc_u32_e32 v45, v84, v80
	v_add_co_ci_u32_e64 v57, s0, s6, v29, s0
	v_add_co_u32 v58, s0, v56, s7
	global_load_dwordx2 v[27:28], v[28:29], off
	v_add_co_ci_u32_e64 v59, s0, s6, v57, s0
	v_add_co_u32 v60, s0, v58, s7
	global_load_dwordx2 v[56:57], v[56:57], off
	;; [unrolled: 3-line block ×5, first 2 shown]
	v_add_co_ci_u32_e64 v67, s0, s6, v65, s0
	global_load_dwordx2 v[64:65], v[64:65], off
	s_clause 0x1
	global_load_dwordx2 v[68:69], v80, s[12:13] offset:1568
	global_load_dwordx2 v[70:71], v80, s[12:13] offset:1680
	global_load_dwordx2 v[66:67], v[66:67], off
	v_lshl_add_u32 v29, v83, 3, v84
	s_waitcnt vmcnt(31)
	v_mul_f32_e32 v72, v1, v5
	v_mul_f32_e32 v6, v0, v5
	s_waitcnt vmcnt(29)
	v_mul_f32_e32 v74, v9, v8
	v_mul_f32_e32 v5, v10, v8
	s_waitcnt vmcnt(28)
	v_mul_f32_e32 v8, v12, v3
	v_fmac_f32_e32 v72, v0, v4
	v_fma_f32 v73, v1, v4, -v6
	v_fma_f32 v6, v10, v7, -v74
	v_fmac_f32_e32 v5, v9, v7
	s_waitcnt vmcnt(26)
	v_mul_f32_e32 v0, v14, v31
	s_waitcnt vmcnt(18)
	v_mul_f32_e32 v7, v17, v35
	v_mul_f32_e32 v75, v11, v3
	;; [unrolled: 1-line block ×5, first 2 shown]
	v_fmac_f32_e32 v0, v13, v30
	v_mul_f32_e32 v9, v18, v35
	s_waitcnt vmcnt(17)
	v_mul_f32_e32 v13, v20, v37
	v_fma_f32 v10, v18, v34, -v7
	v_mul_f32_e32 v7, v19, v37
	v_fma_f32 v1, v14, v30, -v1
	v_fma_f32 v4, v16, v32, -v4
	v_fmac_f32_e32 v3, v15, v32
	v_fmac_f32_e32 v9, v17, v34
	;; [unrolled: 1-line block ×3, first 2 shown]
	v_fma_f32 v14, v20, v36, -v7
	v_fmac_f32_e32 v8, v11, v2
	ds_write_b64 v29, v[72:73]
	s_waitcnt vmcnt(11)
	v_mul_f32_e32 v15, v22, v39
	v_mul_f32_e32 v11, v21, v39
	s_waitcnt vmcnt(10)
	v_mul_f32_e32 v17, v24, v41
	v_mul_f32_e32 v18, v23, v41
	ds_write2_b64 v45, v[0:1], v[3:4] offset0:14 offset1:28
	ds_write2_b64 v45, v[9:10], v[13:14] offset0:42 offset1:56
	s_waitcnt vmcnt(9)
	v_mul_f32_e32 v1, v25, v43
	v_fmac_f32_e32 v15, v21, v38
	v_fma_f32 v16, v22, v38, -v11
	s_waitcnt vmcnt(8)
	v_mul_f32_e32 v4, v27, v47
	v_fmac_f32_e32 v17, v23, v40
	v_fma_f32 v18, v24, v40, -v18
	v_fma_f32 v20, v26, v42, -v1
	v_mul_f32_e32 v19, v26, v43
	s_waitcnt vmcnt(7)
	v_mul_f32_e32 v7, v56, v49
	v_fma_f32 v1, v28, v46, -v4
	v_mul_f32_e32 v0, v28, v47
	v_mul_f32_e32 v3, v57, v49
	ds_write2_b64 v45, v[15:16], v[17:18] offset0:70 offset1:84
	v_fma_f32 v4, v57, v48, -v7
	s_waitcnt vmcnt(6)
	v_mul_f32_e32 v7, v58, v51
	v_mul_f32_e32 v10, v59, v51
	v_fmac_f32_e32 v19, v25, v42
	v_fmac_f32_e32 v0, v27, v46
	s_waitcnt vmcnt(5)
	v_mul_f32_e32 v9, v60, v53
	v_mul_f32_e32 v13, v61, v53
	v_fma_f32 v11, v59, v50, -v7
	v_fmac_f32_e32 v3, v56, v48
	v_fmac_f32_e32 v10, v58, v50
	s_waitcnt vmcnt(4)
	v_mul_f32_e32 v15, v63, v55
	v_fma_f32 v14, v61, v52, -v9
	v_mul_f32_e32 v7, v62, v55
	s_waitcnt vmcnt(2)
	v_mul_f32_e32 v17, v65, v69
	v_mul_f32_e32 v9, v64, v69
	s_waitcnt vmcnt(0)
	v_mul_f32_e32 v21, v67, v71
	v_mul_f32_e32 v22, v66, v71
	v_fmac_f32_e32 v13, v60, v52
	v_fmac_f32_e32 v15, v62, v54
	v_fma_f32 v16, v63, v54, -v7
	v_fmac_f32_e32 v17, v64, v68
	v_fma_f32 v18, v65, v68, -v9
	;; [unrolled: 2-line block ×3, first 2 shown]
	v_fma_f32 v9, v12, v2, -v75
	ds_write2_b64 v45, v[19:20], v[5:6] offset0:98 offset1:112
	ds_write2_b64 v45, v[0:1], v[3:4] offset0:126 offset1:140
	;; [unrolled: 1-line block ×5, first 2 shown]
.LBB0_3:
	s_or_b32 exec_lo, exec_lo, s1
	s_clause 0x1
	s_load_dwordx2 s[2:3], s[4:5], 0x20
	s_load_dwordx2 s[0:1], s[4:5], 0x8
	v_mov_b32_e32 v4, 0
	v_mov_b32_e32 v5, 0
	s_waitcnt lgkmcnt(0)
	s_barrier
	buffer_gl0_inv
                                        ; implicit-def: $vgpr14
                                        ; implicit-def: $vgpr8
                                        ; implicit-def: $vgpr36
                                        ; implicit-def: $vgpr18
                                        ; implicit-def: $vgpr22
                                        ; implicit-def: $vgpr26
                                        ; implicit-def: $vgpr30
                                        ; implicit-def: $vgpr34
	s_and_saveexec_b32 s4, vcc_lo
	s_cbranch_execz .LBB0_5
; %bb.4:
	v_lshl_add_u32 v0, v82, 3, v80
	ds_read2_b64 v[4:7], v0 offset1:14
	ds_read2_b64 v[32:35], v0 offset0:28 offset1:42
	ds_read2_b64 v[28:31], v0 offset0:56 offset1:70
	;; [unrolled: 1-line block ×7, first 2 shown]
	ds_read_b64 v[36:37], v0 offset:1792
.LBB0_5:
	s_or_b32 exec_lo, exec_lo, s4
	s_waitcnt lgkmcnt(0)
	v_sub_f32_e32 v91, v7, v37
	v_add_f32_e32 v53, v36, v6
	v_sub_f32_e32 v95, v6, v36
	v_sub_f32_e32 v92, v33, v11
	v_add_f32_e32 v55, v37, v7
	v_mul_f32_e32 v68, 0xbeb8f4ab, v91
	v_add_f32_e32 v54, v10, v32
	v_sub_f32_e32 v97, v32, v10
	v_mul_f32_e32 v73, 0xbeb8f4ab, v95
	v_mul_f32_e32 v63, 0xbf2c7751, v92
	v_fmamk_f32 v0, v53, 0x3f6eb680, v68
	v_sub_f32_e32 v94, v35, v9
	v_add_f32_e32 v56, v11, v33
	v_mul_f32_e32 v65, 0xbf2c7751, v97
	v_fma_f32 v1, 0x3f6eb680, v55, -v73
	v_fmamk_f32 v2, v54, 0x3f3d2fb0, v63
	v_add_f32_e32 v0, v0, v4
	v_add_f32_e32 v57, v8, v34
	v_mul_f32_e32 v67, 0xbf65296c, v94
	v_sub_f32_e32 v109, v34, v8
	v_fma_f32 v3, 0x3f3d2fb0, v56, -v65
	v_add_f32_e32 v1, v1, v5
	v_add_f32_e32 v0, v2, v0
	;; [unrolled: 1-line block ×3, first 2 shown]
	v_sub_f32_e32 v98, v29, v15
	v_fmamk_f32 v2, v57, 0x3ee437d1, v67
	v_mul_f32_e32 v72, 0xbf65296c, v109
	v_sub_f32_e32 v118, v28, v14
	v_add_f32_e32 v1, v3, v1
	v_add_f32_e32 v59, v14, v28
	v_mul_f32_e32 v71, 0xbf7ee86f, v98
	v_add_f32_e32 v0, v2, v0
	v_fma_f32 v2, 0x3ee437d1, v58, -v72
	v_add_f32_e32 v60, v15, v29
	v_mul_f32_e32 v74, 0xbf7ee86f, v118
	v_sub_f32_e32 v103, v31, v13
	v_fmamk_f32 v3, v59, 0x3dbcf732, v71
	v_add_f32_e32 v1, v2, v1
	v_add_f32_e32 v61, v12, v30
	v_fma_f32 v2, 0x3dbcf732, v60, -v74
	v_mul_f32_e32 v75, 0xbf763a35, v103
	v_sub_f32_e32 v119, v30, v12
	v_add_f32_e32 v0, v3, v0
	v_add_f32_e32 v64, v13, v31
	;; [unrolled: 1-line block ×3, first 2 shown]
	v_fmamk_f32 v2, v61, 0xbe8c1d8e, v75
	v_mul_f32_e32 v78, 0xbf763a35, v119
	v_sub_f32_e32 v120, v24, v18
	v_add_f32_e32 v66, v19, v25
	v_sub_f32_e32 v122, v26, v16
	v_add_f32_e32 v0, v2, v0
	v_fma_f32 v2, 0xbe8c1d8e, v64, -v78
	v_mul_f32_e32 v85, 0xbf4c4adb, v120
	v_add_f32_e32 v70, v17, v27
	v_mul_f32_e32 v88, 0xbf06c442, v122
	v_mul_f32_e32 v99, 0xbf2c7751, v91
	v_add_f32_e32 v1, v2, v1
	v_fma_f32 v2, 0xbf1a4643, v66, -v85
	v_mul_f32_e32 v101, 0xbf7ee86f, v92
	v_mul_f32_e32 v102, 0xbf4c4adb, v94
	v_sub_f32_e32 v111, v25, v19
	v_mul_f32_e32 v104, 0xbe3c28d5, v98
	v_add_f32_e32 v1, v2, v1
	v_fma_f32 v2, 0xbf59a7d5, v70, -v88
	v_fmamk_f32 v38, v54, 0x3dbcf732, v101
	v_add_f32_e32 v62, v18, v24
	v_mul_f32_e32 v77, 0xbf4c4adb, v111
	v_sub_f32_e32 v100, v27, v17
	v_add_f32_e32 v1, v2, v1
	v_fmamk_f32 v2, v53, 0x3f3d2fb0, v99
	v_mul_f32_e32 v105, 0x3f06c442, v103
	v_fmamk_f32 v3, v62, 0xbf1a4643, v77
	v_add_f32_e32 v69, v16, v26
	v_mul_f32_e32 v87, 0xbf06c442, v100
	v_add_f32_e32 v2, v2, v4
	v_sub_f32_e32 v93, v21, v23
	v_mul_f32_e32 v106, 0x3f763a35, v111
	v_add_f32_e32 v0, v3, v0
	v_fmamk_f32 v3, v69, 0xbf59a7d5, v87
	v_add_f32_e32 v2, v38, v2
	v_fmamk_f32 v38, v57, 0xbf1a4643, v102
	v_add_f32_e32 v76, v22, v20
	v_mul_f32_e32 v89, 0xbe3c28d5, v93
	v_mul_f32_e32 v107, 0x3f65296c, v100
	v_add_f32_e32 v0, v3, v0
	v_add_f32_e32 v2, v38, v2
	v_fmamk_f32 v38, v59, 0xbf7ba420, v104
	v_mul_f32_e32 v116, 0xbf2c7751, v95
	v_fmamk_f32 v40, v76, 0xbf7ba420, v89
	v_mul_f32_e32 v124, 0xbf65296c, v91
	v_mul_f32_e32 v137, 0xbf65296c, v95
	v_add_f32_e32 v2, v38, v2
	v_fmamk_f32 v38, v61, 0xbf59a7d5, v105
	v_fma_f32 v3, 0x3f3d2fb0, v55, -v116
	v_mul_f32_e32 v117, 0xbf7ee86f, v97
	v_add_f32_e32 v45, v40, v0
	v_mul_f32_e32 v131, 0xbf4c4adb, v92
	v_add_f32_e32 v2, v38, v2
	v_fmamk_f32 v38, v62, 0xbe8c1d8e, v106
	v_fma_f32 v40, 0x3ee437d1, v55, -v137
	v_mul_f32_e32 v138, 0xbf4c4adb, v97
	v_add_f32_e32 v3, v3, v5
	v_fma_f32 v39, 0x3dbcf732, v56, -v117
	v_add_f32_e32 v2, v38, v2
	v_fmamk_f32 v38, v69, 0x3ee437d1, v107
	v_mul_f32_e32 v110, 0xbf4c4adb, v109
	v_fmamk_f32 v41, v54, 0xbf1a4643, v131
	v_mul_f32_e32 v130, 0x3e3c28d5, v94
	v_add_f32_e32 v40, v40, v5
	v_add_f32_e32 v2, v38, v2
	v_fmamk_f32 v38, v53, 0x3ee437d1, v124
	v_fma_f32 v42, 0xbf1a4643, v56, -v138
	v_mul_f32_e32 v136, 0x3e3c28d5, v109
	v_add_f32_e32 v3, v39, v3
	v_fma_f32 v39, 0xbf1a4643, v58, -v110
	v_add_f32_e32 v38, v38, v4
	v_mul_f32_e32 v112, 0xbe3c28d5, v118
	v_mul_f32_e32 v129, 0x3f763a35, v98
	v_add_f32_e32 v40, v42, v40
	v_fma_f32 v42, 0xbf7ba420, v58, -v136
	v_add_f32_e32 v38, v41, v38
	v_fmamk_f32 v41, v57, 0xbf7ba420, v130
	v_mul_f32_e32 v135, 0x3f763a35, v118
	v_add_f32_e32 v3, v39, v3
	v_fma_f32 v39, 0xbf7ba420, v60, -v112
	v_mul_f32_e32 v113, 0x3f06c442, v119
	v_add_f32_e32 v38, v41, v38
	v_fmamk_f32 v41, v59, 0xbe8c1d8e, v129
	v_mul_f32_e32 v128, 0x3f2c7751, v103
	v_add_f32_e32 v40, v42, v40
	v_fma_f32 v42, 0xbe8c1d8e, v60, -v135
	v_mul_f32_e32 v134, 0x3f2c7751, v119
	v_add_f32_e32 v3, v39, v3
	v_fma_f32 v39, 0xbf59a7d5, v64, -v113
	v_mul_f32_e32 v114, 0x3f763a35, v120
	v_add_f32_e32 v38, v41, v38
	v_fmamk_f32 v41, v61, 0x3f3d2fb0, v128
	v_mul_f32_e32 v127, 0xbeb8f4ab, v111
	v_add_f32_e32 v40, v42, v40
	v_fma_f32 v42, 0x3f3d2fb0, v64, -v134
	v_mul_f32_e32 v133, 0xbeb8f4ab, v120
	v_sub_f32_e32 v108, v20, v22
	v_add_f32_e32 v3, v39, v3
	v_fma_f32 v39, 0xbe8c1d8e, v66, -v114
	v_mul_f32_e32 v115, 0x3f65296c, v122
	v_add_f32_e32 v38, v41, v38
	v_fmamk_f32 v41, v62, 0x3f6eb680, v127
	v_mul_f32_e32 v125, 0xbf7ee86f, v100
	v_add_f32_e32 v40, v42, v40
	v_fma_f32 v42, 0x3f6eb680, v66, -v133
	v_mul_f32_e32 v132, 0xbf7ee86f, v122
	v_add_f32_e32 v86, v23, v21
	v_mul_f32_e32 v90, 0xbe3c28d5, v108
	v_add_f32_e32 v3, v39, v3
	v_fma_f32 v39, 0x3ee437d1, v70, -v115
	v_mul_f32_e32 v96, 0x3eb8f4ab, v93
	v_mul_f32_e32 v121, 0x3eb8f4ab, v108
	v_add_f32_e32 v38, v41, v38
	v_fmamk_f32 v41, v69, 0x3dbcf732, v125
	v_mul_f32_e32 v123, 0xbf06c442, v93
	v_add_f32_e32 v40, v42, v40
	v_fma_f32 v42, 0x3dbcf732, v70, -v132
	v_mul_f32_e32 v126, 0xbf06c442, v108
	v_fma_f32 v0, 0xbf7ba420, v86, -v90
	v_add_f32_e32 v3, v39, v3
	v_fmamk_f32 v39, v76, 0x3f6eb680, v96
	v_fma_f32 v43, 0x3f6eb680, v86, -v121
	v_add_f32_e32 v38, v41, v38
	v_fmamk_f32 v41, v76, 0xbf59a7d5, v123
	v_add_f32_e32 v40, v42, v40
	v_fma_f32 v42, 0xbf59a7d5, v86, -v126
	v_add_f32_e32 v46, v0, v1
	v_add_f32_e32 v2, v39, v2
	;; [unrolled: 1-line block ×5, first 2 shown]
	s_barrier
	buffer_gl0_inv
	s_and_saveexec_b32 s4, vcc_lo
	s_cbranch_execz .LBB0_7
; %bb.6:
	v_mul_f32_e32 v148, 0xbe8c1d8e, v55
	v_mul_f32_e32 v140, 0xbf59a7d5, v56
	v_mul_f32_e32 v147, 0xbf763a35, v91
	v_mul_f32_e32 v143, 0x3f3d2fb0, v58
	v_mul_f32_e32 v149, 0x3f06c442, v92
	v_fmamk_f32 v38, v95, 0x3f763a35, v148
	v_fmamk_f32 v40, v97, 0xbf06c442, v140
	;; [unrolled: 1-line block ×3, first 2 shown]
	v_mul_f32_e32 v142, 0x3ee437d1, v60
	v_mul_f32_e32 v150, 0x3f2c7751, v94
	v_add_f32_e32 v38, v38, v5
	v_fmamk_f32 v41, v54, 0xbf59a7d5, v149
	v_add_f32_e32 v39, v39, v4
	v_fmamk_f32 v42, v109, 0xbf2c7751, v143
	v_mul_f32_e32 v153, 0xbf65296c, v98
	v_add_f32_e32 v38, v40, v38
	v_fmamk_f32 v40, v57, 0x3f3d2fb0, v150
	v_add_f32_e32 v39, v41, v39
	v_mul_f32_e32 v154, 0xbf7ba420, v64
	v_fmamk_f32 v41, v118, 0x3f65296c, v142
	v_add_f32_e32 v38, v42, v38
	v_fmamk_f32 v42, v59, 0x3ee437d1, v153
	v_add_f32_e32 v39, v40, v39
	v_mul_f32_e32 v145, 0x3dbcf732, v66
	v_mul_f32_e32 v151, 0xbe3c28d5, v103
	v_add_f32_e32 v38, v41, v38
	v_fmamk_f32 v40, v119, 0x3e3c28d5, v154
	v_add_f32_e32 v39, v42, v39
	v_mul_f32_e32 v146, 0x3f7ee86f, v111
	v_fmamk_f32 v41, v61, 0xbf7ba420, v151
	v_fmamk_f32 v42, v120, 0xbf7ee86f, v145
	v_add_f32_e32 v38, v40, v38
	v_mul_f32_e32 v144, 0x3f6eb680, v70
	v_fmamk_f32 v40, v62, 0x3dbcf732, v146
	v_add_f32_e32 v39, v41, v39
	v_mul_f32_e32 v152, 0xbeb8f4ab, v100
	v_add_f32_e32 v38, v42, v38
	v_fmamk_f32 v41, v122, 0x3eb8f4ab, v144
	v_mul_f32_e32 v139, 0xbf1a4643, v86
	v_add_f32_e32 v39, v40, v39
	v_fmamk_f32 v40, v69, 0x3f6eb680, v152
	v_mul_f32_e32 v51, 0xbf1a4643, v55
	v_add_f32_e32 v38, v41, v38
	v_fmamk_f32 v41, v108, 0x3f4c4adb, v139
	v_mul_f32_e32 v52, 0xbf4c4adb, v91
	v_add_f32_e32 v40, v40, v39
	v_mul_f32_e32 v155, 0xbe8c1d8e, v56
	v_mul_f32_e32 v156, 0x3f763a35, v92
	v_add_f32_e32 v39, v41, v38
	v_fmamk_f32 v38, v95, 0x3f4c4adb, v51
	v_fmamk_f32 v42, v53, 0xbf1a4643, v52
	;; [unrolled: 1-line block ×3, first 2 shown]
	v_mul_f32_e32 v157, 0x3f6eb680, v58
	v_fmamk_f32 v47, v54, 0xbe8c1d8e, v156
	v_add_f32_e32 v38, v38, v5
	v_add_f32_e32 v42, v42, v4
	v_mul_f32_e32 v158, 0xbeb8f4ab, v94
	v_mul_f32_e32 v159, 0xbf59a7d5, v60
	;; [unrolled: 1-line block ×3, first 2 shown]
	v_add_f32_e32 v38, v43, v38
	v_fmamk_f32 v43, v109, 0x3eb8f4ab, v157
	v_add_f32_e32 v42, v47, v42
	v_fmamk_f32 v47, v57, 0x3f6eb680, v158
	v_mul_f32_e32 v161, 0x3dbcf732, v64
	v_mul_f32_e32 v162, 0x3f7ee86f, v103
	v_add_f32_e32 v38, v43, v38
	v_fmamk_f32 v43, v118, 0x3f06c442, v159
	v_add_f32_e32 v42, v47, v42
	v_fmamk_f32 v47, v59, 0xbf59a7d5, v160
	v_mul_f32_e32 v163, 0x3f3d2fb0, v66
	v_mul_f32_e32 v141, 0xbf4c4adb, v93
	;; [unrolled: 6-line block ×3, first 2 shown]
	v_add_f32_e32 v38, v43, v38
	v_fmamk_f32 v43, v120, 0x3f2c7751, v163
	v_fmamk_f32 v41, v76, 0xbf1a4643, v141
	v_add_f32_e32 v42, v47, v42
	v_fmamk_f32 v47, v62, 0x3f3d2fb0, v164
	v_mul_f32_e32 v166, 0xbe3c28d5, v100
	v_add_f32_e32 v43, v43, v38
	v_fmamk_f32 v48, v122, 0x3e3c28d5, v165
	v_mul_f32_e32 v167, 0x3ee437d1, v86
	v_add_f32_e32 v42, v47, v42
	v_fmamk_f32 v47, v69, 0xbf7ba420, v166
	v_add_f32_e32 v38, v41, v40
	v_add_f32_e32 v40, v48, v43
	v_fmamk_f32 v41, v108, 0xbf65296c, v167
	v_mul_f32_e32 v49, 0xbf59a7d5, v55
	v_mul_f32_e32 v50, 0xbf06c442, v91
	v_add_f32_e32 v42, v47, v42
	v_mul_f32_e32 v169, 0x3ee437d1, v56
	v_add_f32_e32 v41, v41, v40
	v_fmamk_f32 v40, v95, 0x3f06c442, v49
	v_fmamk_f32 v47, v53, 0xbf59a7d5, v50
	v_mul_f32_e32 v170, 0x3f65296c, v92
	v_fmac_f32_e32 v51, 0xbf4c4adb, v95
	v_fma_f32 v52, 0xbf1a4643, v53, -v52
	v_add_f32_e32 v40, v40, v5
	v_fmamk_f32 v48, v97, 0xbf65296c, v169
	v_mul_f32_e32 v171, 0x3dbcf732, v58
	v_add_f32_e32 v47, v47, v4
	v_fmamk_f32 v172, v54, 0x3ee437d1, v170
	v_mul_f32_e32 v173, 0xbf7ee86f, v94
	v_add_f32_e32 v51, v51, v5
	v_fmac_f32_e32 v155, 0x3f763a35, v97
	v_add_f32_e32 v52, v52, v4
	v_fma_f32 v156, 0xbe8c1d8e, v54, -v156
	v_add_f32_e32 v40, v48, v40
	v_fmamk_f32 v48, v109, 0x3f7ee86f, v171
	v_mul_f32_e32 v174, 0xbf1a4643, v60
	v_add_f32_e32 v47, v172, v47
	v_fmamk_f32 v172, v57, 0x3dbcf732, v173
	v_mul_f32_e32 v175, 0x3f4c4adb, v98
	v_add_f32_e32 v51, v155, v51
	v_fmac_f32_e32 v157, 0xbeb8f4ab, v109
	v_add_f32_e32 v52, v156, v52
	v_fma_f32 v155, 0x3f6eb680, v57, -v158
	v_fmac_f32_e32 v148, 0xbf763a35, v95
	v_add_f32_e32 v40, v48, v40
	v_fmamk_f32 v48, v118, 0xbf4c4adb, v174
	v_mul_f32_e32 v176, 0x3f6eb680, v64
	v_add_f32_e32 v47, v172, v47
	v_fmamk_f32 v172, v59, 0xbf1a4643, v175
	v_mul_f32_e32 v177, 0xbeb8f4ab, v103
	v_add_f32_e32 v51, v157, v51
	v_add_f32_e32 v155, v155, v52
	v_fma_f32 v157, 0xbf59a7d5, v59, -v160
	v_add_f32_e32 v148, v148, v5
	v_fmac_f32_e32 v140, 0x3f06c442, v97
	v_fma_f32 v147, 0xbe8c1d8e, v53, -v147
	v_mul_f32_e32 v168, 0x3f65296c, v93
	v_add_f32_e32 v40, v48, v40
	v_fmamk_f32 v48, v119, 0x3eb8f4ab, v176
	v_mul_f32_e32 v178, 0xbf7ba420, v66
	v_add_f32_e32 v47, v172, v47
	v_fmamk_f32 v172, v61, 0x3f6eb680, v177
	v_mul_f32_e32 v179, 0xbe3c28d5, v111
	v_add_f32_e32 v155, v157, v155
	v_fma_f32 v157, 0x3dbcf732, v61, -v162
	v_add_f32_e32 v140, v140, v148
	v_fmac_f32_e32 v143, 0x3f2c7751, v109
	v_add_f32_e32 v147, v147, v4
	v_fma_f32 v149, 0xbf59a7d5, v54, -v149
	v_fmamk_f32 v43, v76, 0x3ee437d1, v168
	v_add_f32_e32 v48, v48, v40
	v_fmamk_f32 v180, v120, 0x3e3c28d5, v178
	v_mul_f32_e32 v181, 0x3f3d2fb0, v70
	v_add_f32_e32 v47, v172, v47
	v_fmamk_f32 v172, v62, 0xbf7ba420, v179
	v_mul_f32_e32 v182, 0x3f2c7751, v100
	v_add_f32_e32 v155, v157, v155
	v_fma_f32 v157, 0x3f3d2fb0, v62, -v164
	v_add_f32_e32 v140, v143, v140
	v_fmac_f32_e32 v142, 0xbf65296c, v118
	v_add_f32_e32 v143, v149, v147
	v_fma_f32 v147, 0x3f3d2fb0, v57, -v150
	v_add_f32_e32 v40, v43, v42
	v_add_f32_e32 v42, v180, v48
	v_fmamk_f32 v43, v122, 0xbf2c7751, v181
	v_add_f32_e32 v47, v172, v47
	v_fmamk_f32 v48, v69, 0x3f3d2fb0, v182
	v_mul_f32_e32 v172, 0xbf7ba420, v55
	v_add_f32_e32 v155, v157, v155
	v_fma_f32 v148, 0xbf7ba420, v69, -v166
	v_add_f32_e32 v140, v142, v140
	v_fmac_f32_e32 v154, 0xbe3c28d5, v119
	v_add_f32_e32 v147, v147, v143
	v_fma_f32 v149, 0x3ee437d1, v59, -v153
	v_add_f32_e32 v42, v43, v42
	v_add_f32_e32 v47, v48, v47
	v_fmamk_f32 v43, v95, 0x3e3c28d5, v172
	v_mul_f32_e32 v48, 0x3f6eb680, v56
	v_fmac_f32_e32 v172, 0xbe3c28d5, v95
	v_fmac_f32_e32 v49, 0xbf06c442, v95
	v_add_f32_e32 v148, v148, v155
	v_fma_f32 v142, 0x3ee437d1, v76, -v168
	v_add_f32_e32 v140, v154, v140
	v_fmac_f32_e32 v145, 0x3f7ee86f, v120
	v_mul_f32_e32 v95, 0xbf7ee86f, v95
	v_add_f32_e32 v147, v149, v147
	v_fma_f32 v149, 0xbf7ba420, v61, -v151
	v_add_f32_e32 v187, v43, v5
	v_fmamk_f32 v188, v97, 0xbeb8f4ab, v48
	v_mul_f32_e32 v189, 0xbf59a7d5, v58
	v_fmac_f32_e32 v48, 0x3eb8f4ab, v97
	v_fmac_f32_e32 v169, 0x3f65296c, v97
	v_add_f32_e32 v142, v142, v148
	v_add_f32_e32 v140, v145, v140
	v_fmamk_f32 v145, v55, 0x3dbcf732, v95
	v_mul_f32_e32 v148, 0xbe3c28d5, v97
	v_add_f32_e32 v97, v149, v147
	v_fma_f32 v146, 0x3dbcf732, v62, -v146
	v_add_f32_e32 v187, v188, v187
	v_fmamk_f32 v188, v109, 0x3f06c442, v189
	v_mul_f32_e32 v190, 0x3f3d2fb0, v60
	v_fmac_f32_e32 v189, 0xbf06c442, v109
	v_fmac_f32_e32 v171, 0xbf7ee86f, v109
	;; [unrolled: 1-line block ×3, first 2 shown]
	v_add_f32_e32 v145, v145, v5
	v_fmamk_f32 v147, v56, 0xbf7ba420, v148
	v_mul_f32_e32 v109, 0x3f763a35, v109
	v_add_f32_e32 v97, v146, v97
	v_fma_f32 v146, 0x3f6eb680, v69, -v152
	v_add_f32_e32 v187, v188, v187
	v_fmamk_f32 v188, v118, 0xbf2c7751, v190
	v_mul_f32_e32 v193, 0xbf1a4643, v64
	v_fmac_f32_e32 v190, 0x3f2c7751, v118
	v_fmac_f32_e32 v174, 0x3f4c4adb, v118
	v_fmac_f32_e32 v159, 0xbf06c442, v118
	v_add_f32_e32 v140, v144, v140
	v_add_f32_e32 v144, v147, v145
	v_fmamk_f32 v145, v58, 0xbe8c1d8e, v109
	v_mul_f32_e32 v118, 0x3eb8f4ab, v118
	v_add_f32_e32 v97, v146, v97
	v_mul_f32_e32 v146, 0xbf7ee86f, v91
	v_mul_f32_e32 v180, 0xbe8c1d8e, v86
	;; [unrolled: 1-line block ×3, first 2 shown]
	v_add_f32_e32 v187, v188, v187
	v_fmamk_f32 v188, v119, 0x3f4c4adb, v193
	v_mul_f32_e32 v195, 0x3ee437d1, v66
	v_fmac_f32_e32 v193, 0xbf4c4adb, v119
	v_fmac_f32_e32 v176, 0xbeb8f4ab, v119
	v_fmac_f32_e32 v161, 0x3f7ee86f, v119
	v_add_f32_e32 v91, v145, v144
	v_fmamk_f32 v144, v60, 0x3f6eb680, v118
	v_mul_f32_e32 v119, 0xbf65296c, v119
	v_fma_f32 v145, 0x3dbcf732, v53, -v146
	v_mul_f32_e32 v147, 0xbe3c28d5, v92
	v_fmamk_f32 v184, v108, 0x3f763a35, v180
	v_add_f32_e32 v187, v188, v187
	v_fmamk_f32 v188, v120, 0xbf65296c, v195
	v_fmac_f32_e32 v195, 0x3f65296c, v120
	v_fmac_f32_e32 v178, 0xbe3c28d5, v120
	;; [unrolled: 1-line block ×4, first 2 shown]
	v_add_f32_e32 v91, v144, v91
	v_fmamk_f32 v144, v64, 0x3ee437d1, v119
	v_add_f32_e32 v145, v145, v4
	v_fma_f32 v149, 0xbf7ba420, v54, -v147
	v_mul_f32_e32 v150, 0x3f763a35, v94
	v_mul_f32_e32 v120, 0xbf06c442, v120
	v_add_f32_e32 v43, v184, v42
	v_mul_f32_e32 v184, 0x3eb8f4ab, v92
	v_mul_f32_e32 v192, 0xbf06c442, v94
	v_mul_f32_e32 v194, 0x3f2c7751, v98
	v_fma_f32 v141, 0xbf1a4643, v76, -v141
	v_add_f32_e32 v92, v139, v140
	v_add_f32_e32 v94, v144, v91
	;; [unrolled: 1-line block ×3, first 2 shown]
	v_fma_f32 v140, 0xbe8c1d8e, v57, -v150
	v_mul_f32_e32 v144, 0x3eb8f4ab, v98
	v_fmamk_f32 v98, v66, 0xbf59a7d5, v120
	v_mul_f32_e32 v197, 0xbf4c4adb, v103
	v_add_f32_e32 v91, v141, v97
	v_add_f32_e32 v97, v140, v139
	v_fma_f32 v139, 0x3f6eb680, v59, -v144
	v_add_f32_e32 v94, v98, v94
	v_mul_f32_e32 v98, 0x3ee437d1, v55
	v_mul_f32_e32 v103, 0xbf65296c, v103
	v_fmamk_f32 v42, v53, 0xbf7ba420, v186
	v_add_f32_e32 v97, v139, v97
	v_mul_f32_e32 v139, 0xbf1a4643, v56
	v_add_f32_e32 v98, v137, v98
	v_fma_f32 v137, 0x3ee437d1, v61, -v103
	v_add_f32_e32 v42, v42, v4
	v_fmamk_f32 v191, v54, 0x3f6eb680, v184
	v_add_f32_e32 v138, v138, v139
	v_add_f32_e32 v98, v98, v5
	;; [unrolled: 1-line block ×3, first 2 shown]
	v_mul_f32_e32 v137, 0x3ee437d1, v53
	v_mul_f32_e32 v139, 0xbf7ba420, v58
	;; [unrolled: 1-line block ×3, first 2 shown]
	v_add_f32_e32 v98, v138, v98
	v_mul_f32_e32 v138, 0xbf1a4643, v54
	v_sub_f32_e32 v124, v137, v124
	v_add_f32_e32 v136, v136, v139
	v_mul_f32_e32 v137, 0xbe8c1d8e, v60
	v_add_f32_e32 v42, v191, v42
	v_fmamk_f32 v191, v57, 0xbf59a7d5, v192
	v_add_f32_e32 v187, v188, v187
	v_mul_f32_e32 v188, 0xbe8c1d8e, v70
	v_sub_f32_e32 v131, v138, v131
	v_add_f32_e32 v124, v124, v4
	v_add_f32_e32 v98, v136, v98
	v_mul_f32_e32 v136, 0xbf7ba420, v57
	v_add_f32_e32 v135, v135, v137
	v_fmamk_f32 v185, v76, 0xbe8c1d8e, v183
	v_add_f32_e32 v191, v191, v42
	v_fmamk_f32 v196, v59, 0x3f3d2fb0, v194
	v_fmamk_f32 v198, v122, 0x3f763a35, v188
	v_fmac_f32_e32 v188, 0xbf763a35, v122
	v_fmac_f32_e32 v181, 0x3f2c7751, v122
	;; [unrolled: 1-line block ×3, first 2 shown]
	v_mul_f32_e32 v122, 0x3f4c4adb, v122
	v_add_f32_e32 v124, v131, v124
	v_mul_f32_e32 v131, 0x3f3d2fb0, v64
	v_sub_f32_e32 v130, v136, v130
	v_add_f32_e32 v98, v135, v98
	v_mul_f32_e32 v135, 0xbe8c1d8e, v59
	v_add_f32_e32 v42, v185, v47
	v_add_f32_e32 v47, v196, v191
	v_mul_f32_e32 v191, 0x3f65296c, v111
	v_fmamk_f32 v140, v70, 0xbf1a4643, v122
	v_mul_f32_e32 v111, 0xbf06c442, v111
	v_add_f32_e32 v131, v134, v131
	v_add_f32_e32 v124, v130, v124
	v_mul_f32_e32 v130, 0x3f6eb680, v66
	v_sub_f32_e32 v129, v135, v129
	v_mul_f32_e32 v196, 0xbf763a35, v100
	v_add_f32_e32 v94, v140, v94
	v_fma_f32 v140, 0xbf59a7d5, v62, -v111
	v_add_f32_e32 v98, v131, v98
	v_mul_f32_e32 v131, 0x3f3d2fb0, v61
	v_add_f32_e32 v130, v133, v130
	v_add_f32_e32 v124, v129, v124
	v_mul_f32_e32 v129, 0x3dbcf732, v70
	v_mul_f32_e32 v100, 0x3f4c4adb, v100
	v_add_f32_e32 v97, v140, v97
	v_mul_f32_e32 v134, 0x3f3d2fb0, v53
	v_mul_f32_e32 v135, 0x3f3d2fb0, v55
	v_sub_f32_e32 v128, v131, v128
	v_add_f32_e32 v98, v130, v98
	v_mul_f32_e32 v130, 0x3f6eb680, v62
	v_add_f32_e32 v129, v132, v129
	v_fma_f32 v132, 0xbf1a4643, v69, -v100
	v_add_f32_e32 v124, v128, v124
	v_mul_f32_e32 v128, 0x3dbcf732, v54
	v_sub_f32_e32 v127, v130, v127
	v_mul_f32_e32 v130, 0x3dbcf732, v56
	v_add_f32_e32 v132, v132, v97
	v_add_f32_e32 v97, v129, v98
	v_mul_f32_e32 v98, 0x3dbcf732, v69
	v_add_f32_e32 v116, v116, v135
	v_sub_f32_e32 v99, v134, v99
	v_add_f32_e32 v124, v127, v124
	v_add_f32_e32 v117, v117, v130
	v_sub_f32_e32 v98, v98, v125
	v_mul_f32_e32 v125, 0xbf1a4643, v57
	v_mul_f32_e32 v130, 0xbf1a4643, v58
	v_add_f32_e32 v116, v116, v5
	v_sub_f32_e32 v101, v128, v101
	v_add_f32_e32 v99, v99, v4
	v_add_f32_e32 v124, v98, v124
	;; [unrolled: 1-line block ×4, first 2 shown]
	v_mul_f32_e32 v116, 0xbf7ba420, v59
	v_mul_f32_e32 v117, 0xbf7ba420, v60
	v_add_f32_e32 v99, v101, v99
	v_sub_f32_e32 v102, v125, v102
	v_add_f32_e32 v98, v110, v98
	v_mul_f32_e32 v110, 0xbf59a7d5, v61
	v_add_f32_e32 v112, v112, v117
	v_mul_f32_e32 v117, 0xbf59a7d5, v64
	v_add_f32_e32 v99, v102, v99
	v_sub_f32_e32 v104, v116, v104
	v_add_f32_e32 v172, v172, v5
	v_add_f32_e32 v98, v112, v98
	v_mul_f32_e32 v112, 0xbe8c1d8e, v62
	v_add_f32_e32 v113, v113, v117
	v_add_f32_e32 v99, v104, v99
	v_sub_f32_e32 v105, v110, v105
	v_add_f32_e32 v48, v48, v172
	v_fma_f32 v172, 0xbf7ba420, v53, -v186
	v_mul_f32_e32 v186, 0x3f7ee86f, v93
	v_mul_f32_e32 v136, 0x3f6eb680, v55
	v_add_f32_e32 v98, v113, v98
	v_mul_f32_e32 v113, 0x3ee437d1, v69
	v_add_f32_e32 v99, v105, v99
	v_mul_f32_e32 v134, 0x3f2c7751, v93
	v_sub_f32_e32 v93, v112, v106
	v_add_f32_e32 v7, v7, v5
	v_add_f32_e32 v6, v6, v4
	v_mul_f32_e32 v131, 0x3f3d2fb0, v56
	v_mul_f32_e32 v127, 0x3ee437d1, v58
	v_add_f32_e32 v93, v93, v99
	v_sub_f32_e32 v99, v113, v107
	v_add_f32_e32 v107, v73, v136
	v_add_f32_e32 v7, v33, v7
	;; [unrolled: 1-line block ×8, first 2 shown]
	v_fmamk_f32 v185, v61, 0xbf1a4643, v197
	v_add_f32_e32 v172, v172, v4
	v_fma_f32 v184, 0x3f6eb680, v54, -v184
	v_mul_f32_e32 v135, 0x3dbcf732, v60
	v_add_f32_e32 v33, v65, v99
	v_add_f32_e32 v65, v72, v127
	;; [unrolled: 1-line block ×5, first 2 shown]
	v_fmamk_f32 v185, v62, 0x3ee437d1, v191
	v_add_f32_e32 v172, v184, v172
	v_fma_f32 v184, 0xbf59a7d5, v57, -v192
	v_mul_f32_e32 v128, 0xbe8c1d8e, v64
	v_add_f32_e32 v32, v65, v33
	v_add_f32_e32 v33, v74, v135
	;; [unrolled: 1-line block ×5, first 2 shown]
	v_fmamk_f32 v185, v69, 0xbe8c1d8e, v196
	v_add_f32_e32 v187, v198, v187
	v_mul_f32_e32 v198, 0x3dbcf732, v86
	v_add_f32_e32 v172, v184, v172
	v_fma_f32 v184, 0x3f3d2fb0, v59, -v194
	v_mul_f32_e32 v125, 0xbf1a4643, v66
	v_add_f32_e32 v32, v33, v32
	v_add_f32_e32 v31, v78, v128
	;; [unrolled: 1-line block ×5, first 2 shown]
	v_fmamk_f32 v185, v108, 0xbf7ee86f, v198
	v_add_f32_e32 v189, v189, v48
	v_add_f32_e32 v49, v49, v5
	;; [unrolled: 1-line block ×3, first 2 shown]
	v_fma_f32 v184, 0xbf1a4643, v61, -v197
	v_fma_f32 v50, 0xbf59a7d5, v53, -v50
	v_mul_f32_e32 v116, 0xbf59a7d5, v70
	v_add_f32_e32 v25, v31, v32
	v_add_f32_e32 v30, v85, v125
	;; [unrolled: 1-line block ×5, first 2 shown]
	v_fmamk_f32 v185, v76, 0x3dbcf732, v186
	v_add_f32_e32 v187, v190, v189
	v_add_f32_e32 v49, v169, v49
	;; [unrolled: 1-line block ×3, first 2 shown]
	v_fma_f32 v184, 0x3ee437d1, v62, -v191
	v_add_f32_e32 v50, v50, v4
	v_fma_f32 v170, 0x3ee437d1, v54, -v170
	v_mul_f32_e32 v137, 0x3f6eb680, v53
	v_mul_f32_e32 v110, 0xbf7ba420, v86
	v_add_f32_e32 v24, v30, v25
	v_add_f32_e32 v25, v88, v116
	;; [unrolled: 1-line block ×8, first 2 shown]
	v_fma_f32 v172, 0xbe8c1d8e, v69, -v196
	v_add_f32_e32 v50, v170, v50
	v_fma_f32 v170, 0x3dbcf732, v57, -v173
	v_mul_f32_e32 v133, 0x3f3d2fb0, v54
	v_sub_f32_e32 v68, v137, v68
	v_add_f32_e32 v24, v25, v24
	v_add_f32_e32 v7, v23, v7
	;; [unrolled: 1-line block ×8, first 2 shown]
	v_fma_f32 v172, 0xbf1a4643, v59, -v175
	v_mul_f32_e32 v138, 0x3ee437d1, v57
	v_mul_f32_e32 v129, 0xbf59a7d5, v86
	v_add_f32_e32 v68, v68, v4
	v_sub_f32_e32 v63, v133, v63
	v_add_f32_e32 v17, v17, v7
	v_add_f32_e32 v7, v23, v24
	v_fma_f32 v23, 0x3dbcf732, v55, -v95
	v_fmac_f32_e32 v146, 0x3dbcf732, v53
	v_add_f32_e32 v16, v16, v22
	v_add_f32_e32 v169, v188, v185
	v_fmac_f32_e32 v198, 0x3f7ee86f, v108
	v_add_f32_e32 v49, v176, v49
	v_fma_f32 v173, 0x3dbcf732, v76, -v186
	v_add_f32_e32 v170, v172, v170
	v_fma_f32 v172, 0x3f6eb680, v61, -v177
	v_add_f32_e32 v126, v126, v129
	v_mul_f32_e32 v129, 0x3dbcf732, v59
	v_add_f32_e32 v63, v63, v68
	v_sub_f32_e32 v35, v138, v67
	v_add_f32_e32 v17, v19, v17
	v_add_f32_e32 v5, v23, v5
	v_fma_f32 v19, 0xbf7ba420, v56, -v148
	v_add_f32_e32 v4, v146, v4
	v_fmac_f32_e32 v147, 0xbf7ba420, v54
	v_add_f32_e32 v16, v18, v16
	v_add_f32_e32 v50, v198, v169
	;; [unrolled: 1-line block ×5, first 2 shown]
	v_fma_f32 v171, 0xbf7ba420, v62, -v179
	v_mul_f32_e32 v130, 0xbe8c1d8e, v61
	v_add_f32_e32 v29, v35, v63
	v_sub_f32_e32 v34, v129, v71
	v_add_f32_e32 v13, v13, v17
	v_add_f32_e32 v5, v19, v5
	v_fma_f32 v17, 0xbe8c1d8e, v58, -v109
	v_add_f32_e32 v4, v147, v4
	v_fmac_f32_e32 v150, 0xbe8c1d8e, v57
	v_add_f32_e32 v12, v12, v16
	v_add_f32_e32 v170, v171, v170
	v_fma_f32 v171, 0x3f3d2fb0, v69, -v182
	v_mul_f32_e32 v101, 0xbf1a4643, v62
	v_add_f32_e32 v28, v34, v29
	v_sub_f32_e32 v29, v130, v75
	v_add_f32_e32 v13, v15, v13
	v_add_f32_e32 v5, v17, v5
	v_fma_f32 v15, 0x3f6eb680, v60, -v118
	v_add_f32_e32 v4, v150, v4
	v_fmac_f32_e32 v144, 0x3f6eb680, v59
	v_add_f32_e32 v12, v14, v12
	v_mul_f32_e32 v117, 0xbe8c1d8e, v66
	v_add_f32_e32 v156, v171, v170
	v_fma_f32 v158, 0xbe8c1d8e, v76, -v183
	v_add_f32_e32 v159, v159, v51
	v_mul_f32_e32 v102, 0xbf59a7d5, v69
	v_add_f32_e32 v28, v29, v28
	v_sub_f32_e32 v27, v101, v77
	v_add_f32_e32 v9, v9, v13
	v_add_f32_e32 v5, v15, v5
	v_fma_f32 v13, 0x3ee437d1, v64, -v119
	v_add_f32_e32 v4, v144, v4
	v_fmac_f32_e32 v103, 0x3ee437d1, v61
	v_add_f32_e32 v8, v8, v12
	v_add_f32_e32 v114, v114, v117
	v_mul_f32_e32 v117, 0x3ee437d1, v70
	v_add_f32_e32 v51, v158, v156
	v_add_f32_e32 v156, v161, v159
	v_mul_f32_e32 v104, 0xbf7ba420, v76
	v_add_f32_e32 v21, v27, v28
	v_sub_f32_e32 v26, v102, v87
	v_add_f32_e32 v9, v11, v9
	v_add_f32_e32 v11, v13, v5
	v_fma_f32 v12, 0xbf59a7d5, v66, -v120
	v_add_f32_e32 v4, v103, v4
	v_fmac_f32_e32 v111, 0xbf59a7d5, v62
	v_add_f32_e32 v8, v10, v8
	v_mul_lo_u16 v10, v83, 17
	v_add_f32_e32 v98, v114, v98
	v_mul_f32_e32 v114, 0x3f6eb680, v76
	v_add_f32_e32 v115, v115, v117
	v_mul_f32_e32 v105, 0xbf59a7d5, v76
	v_mul_f32_e32 v106, 0x3f6eb680, v86
	v_fmac_f32_e32 v180, 0xbf763a35, v108
	v_fmac_f32_e32 v167, 0x3f65296c, v108
	v_mul_f32_e32 v108, 0x3f2c7751, v108
	v_add_f32_e32 v156, v163, v156
	v_add_f32_e32 v20, v26, v21
	v_sub_f32_e32 v21, v104, v89
	v_add_f32_e32 v5, v37, v9
	v_add_f32_e32 v9, v12, v11
	v_fma_f32 v11, 0xbf1a4643, v70, -v122
	v_add_f32_e32 v12, v111, v4
	v_fmac_f32_e32 v100, 0xbf1a4643, v69
	v_add_f32_e32 v4, v36, v8
	v_and_b32_e32 v8, 0xffff, v10
	v_sub_f32_e32 v105, v105, v123
	v_add_f32_e32 v115, v115, v98
	v_add_f32_e32 v106, v121, v106
	v_sub_f32_e32 v96, v114, v96
	v_fmamk_f32 v117, v86, 0x3f3d2fb0, v108
	v_fma_f32 v112, 0x3f3d2fb0, v76, -v134
	v_add_f32_e32 v169, v181, v169
	v_add_f32_e32 v156, v165, v156
	v_add_f32_e32 v6, v21, v20
	v_add_f32_e32 v9, v11, v9
	v_fma_f32 v10, 0x3f3d2fb0, v86, -v108
	v_add_f32_e32 v11, v100, v12
	v_fmac_f32_e32 v134, 0x3f3d2fb0, v76
	v_add_lshl_u32 v12, v82, v8, 3
	v_add_f32_e32 v98, v126, v97
	v_add_f32_e32 v97, v105, v124
	;; [unrolled: 1-line block ×10, first 2 shown]
	ds_write2_b64 v12, v[4:5], v[6:7] offset1:1
	ds_write2_b64 v12, v[72:73], v[97:98] offset0:2 offset1:3
	ds_write2_b64 v12, v[93:94], v[91:92] offset0:4 offset1:5
	;; [unrolled: 1-line block ×7, first 2 shown]
	ds_write_b64 v12, v[45:46] offset:128
.LBB0_7:
	s_or_b32 exec_lo, exec_lo, s4
	v_mul_u32_u24_e32 v4, 6, v83
	s_load_dwordx4 s[4:7], s[2:3], 0x0
	s_waitcnt lgkmcnt(0)
	s_barrier
	buffer_gl0_inv
	v_lshlrev_b32_e32 v47, 3, v4
	v_add_lshl_u32 v85, v82, v83, 3
	v_mul_i32_i24_e32 v49, 0xffffffd8, v83
	v_mul_hi_i32_i24_e32 v48, 0xffffffd8, v83
	v_lshl_add_u32 v86, v83, 3, v84
	s_clause 0x2
	global_load_dwordx4 v[12:15], v47, s[0:1]
	global_load_dwordx4 v[8:11], v47, s[0:1] offset:16
	global_load_dwordx4 v[4:7], v47, s[0:1] offset:32
	ds_read2_b64 v[16:19], v85 offset0:34 offset1:51
	ds_read2_b64 v[20:23], v85 offset0:68 offset1:85
	;; [unrolled: 1-line block ×3, first 2 shown]
	ds_read2_b64 v[28:31], v85 offset1:17
	ds_read2_b64 v[32:35], v85 offset0:136 offset1:153
	ds_read2_b64 v[36:39], v85 offset0:170 offset1:187
	ds_read2_b64 v[40:43], v85 offset0:204 offset1:221
	v_add_co_u32 v47, s0, s0, v47
	v_add_co_ci_u32_e64 v50, null, s1, 0, s0
	s_waitcnt vmcnt(0) lgkmcnt(0)
	v_add_co_u32 v47, s0, v47, v49
	v_add_co_ci_u32_e64 v48, s0, v50, v48, s0
	s_barrier
	buffer_gl0_inv
	v_mul_f32_e32 v49, v17, v13
	v_mul_f32_e32 v50, v16, v13
	;; [unrolled: 1-line block ×24, first 2 shown]
	v_fma_f32 v16, v16, v12, -v49
	v_fmac_f32_e32 v50, v17, v12
	v_fma_f32 v17, v20, v14, -v51
	v_fmac_f32_e32 v52, v21, v14
	;; [unrolled: 2-line block ×12, first 2 shown]
	v_add_f32_e32 v32, v16, v25
	v_add_f32_e32 v33, v50, v60
	;; [unrolled: 1-line block ×4, first 2 shown]
	v_sub_f32_e32 v16, v16, v25
	v_sub_f32_e32 v25, v50, v60
	;; [unrolled: 1-line block ×4, first 2 shown]
	v_add_f32_e32 v36, v20, v21
	v_add_f32_e32 v37, v54, v56
	v_sub_f32_e32 v20, v21, v20
	v_sub_f32_e32 v21, v56, v54
	v_add_f32_e32 v38, v18, v27
	v_add_f32_e32 v39, v62, v72
	;; [unrolled: 1-line block ×4, first 2 shown]
	v_sub_f32_e32 v18, v18, v27
	v_sub_f32_e32 v27, v62, v72
	;; [unrolled: 1-line block ×4, first 2 shown]
	v_add_f32_e32 v42, v22, v23
	v_add_f32_e32 v43, v66, v68
	v_sub_f32_e32 v22, v23, v22
	v_sub_f32_e32 v23, v68, v66
	v_add_f32_e32 v49, v34, v32
	v_add_f32_e32 v50, v35, v33
	v_sub_f32_e32 v51, v34, v32
	v_sub_f32_e32 v52, v35, v33
	;; [unrolled: 1-line block ×6, first 2 shown]
	v_add_f32_e32 v53, v20, v17
	v_add_f32_e32 v54, v21, v24
	v_sub_f32_e32 v55, v20, v17
	v_sub_f32_e32 v56, v21, v24
	v_sub_f32_e32 v57, v17, v16
	v_sub_f32_e32 v24, v24, v25
	v_add_f32_e32 v17, v40, v38
	v_add_f32_e32 v58, v41, v39
	v_sub_f32_e32 v59, v40, v38
	v_sub_f32_e32 v60, v41, v39
	;; [unrolled: 1-line block ×5, first 2 shown]
	v_add_f32_e32 v61, v22, v19
	v_add_f32_e32 v62, v23, v26
	v_sub_f32_e32 v63, v22, v19
	v_sub_f32_e32 v64, v23, v26
	;; [unrolled: 1-line block ×4, first 2 shown]
	v_add_f32_e32 v36, v36, v49
	v_add_f32_e32 v37, v37, v50
	v_sub_f32_e32 v20, v16, v20
	v_sub_f32_e32 v21, v25, v21
	v_sub_f32_e32 v41, v43, v41
	v_add_f32_e32 v49, v53, v16
	v_add_f32_e32 v25, v54, v25
	v_mul_f32_e32 v19, 0x3f4a47b2, v32
	v_mul_f32_e32 v32, 0x3f4a47b2, v33
	;; [unrolled: 1-line block ×8, first 2 shown]
	v_add_f32_e32 v42, v42, v17
	v_add_f32_e32 v43, v43, v58
	v_sub_f32_e32 v22, v18, v22
	v_sub_f32_e32 v23, v27, v23
	v_add_f32_e32 v58, v61, v18
	v_mul_f32_e32 v38, 0x3f4a47b2, v38
	v_mul_f32_e32 v39, 0x3f4a47b2, v39
	;; [unrolled: 1-line block ×7, first 2 shown]
	v_add_f32_e32 v16, v28, v36
	v_add_f32_e32 v17, v29, v37
	v_fmamk_f32 v28, v34, 0x3d64c772, v19
	v_fmamk_f32 v29, v35, 0x3d64c772, v32
	v_fma_f32 v33, 0x3f3bfb3b, v51, -v33
	v_fma_f32 v34, 0x3f3bfb3b, v52, -v50
	;; [unrolled: 1-line block ×4, first 2 shown]
	v_fmamk_f32 v50, v20, 0x3eae86e6, v53
	v_fmamk_f32 v51, v21, 0x3eae86e6, v54
	v_fma_f32 v52, 0x3f5ff5aa, v57, -v53
	v_fma_f32 v53, 0x3f5ff5aa, v24, -v54
	;; [unrolled: 1-line block ×4, first 2 shown]
	v_add_f32_e32 v18, v30, v42
	v_add_f32_e32 v19, v31, v43
	;; [unrolled: 1-line block ×3, first 2 shown]
	v_mul_f32_e32 v62, 0x3d64c772, v41
	v_fmamk_f32 v21, v41, 0x3d64c772, v39
	v_fma_f32 v24, 0x3f3bfb3b, v59, -v61
	v_fma_f32 v31, 0xbf3bfb3b, v59, -v38
	v_fmamk_f32 v56, v22, 0x3eae86e6, v63
	v_fmamk_f32 v57, v23, 0x3eae86e6, v64
	v_fma_f32 v41, 0xbeae86e6, v22, -v66
	v_fma_f32 v59, 0xbeae86e6, v23, -v67
	v_fmamk_f32 v22, v36, 0xbf955555, v16
	v_fmamk_f32 v23, v37, 0xbf955555, v17
	;; [unrolled: 1-line block ×3, first 2 shown]
	v_fma_f32 v40, 0x3f5ff5aa, v26, -v64
	v_fma_f32 v38, 0xbf3bfb3b, v60, -v39
	v_fmac_f32_e32 v51, 0x3ee1c552, v25
	v_fmac_f32_e32 v53, 0x3ee1c552, v25
	v_fmac_f32_e32 v55, 0x3ee1c552, v25
	v_fmamk_f32 v25, v42, 0xbf955555, v18
	v_fmamk_f32 v26, v43, 0xbf955555, v19
	v_fma_f32 v30, 0x3f3bfb3b, v60, -v62
	v_fma_f32 v39, 0x3f5ff5aa, v65, -v63
	v_fmac_f32_e32 v50, 0x3ee1c552, v49
	v_add_f32_e32 v36, v28, v22
	v_add_f32_e32 v37, v29, v23
	v_fmac_f32_e32 v52, 0x3ee1c552, v49
	v_fmac_f32_e32 v54, 0x3ee1c552, v49
	;; [unrolled: 1-line block ×5, first 2 shown]
	v_add_f32_e32 v27, v33, v22
	v_add_f32_e32 v28, v34, v23
	;; [unrolled: 1-line block ×4, first 2 shown]
	v_fmac_f32_e32 v56, 0x3ee1c552, v58
	v_fmac_f32_e32 v41, 0x3ee1c552, v58
	v_add_f32_e32 v42, v20, v25
	v_add_f32_e32 v43, v21, v26
	;; [unrolled: 1-line block ×4, first 2 shown]
	v_fmac_f32_e32 v39, 0x3ee1c552, v58
	v_add_f32_e32 v49, v24, v25
	v_add_f32_e32 v58, v30, v26
	;; [unrolled: 1-line block ×3, first 2 shown]
	v_sub_f32_e32 v21, v37, v50
	v_add_f32_e32 v22, v55, v29
	v_sub_f32_e32 v23, v32, v54
	v_sub_f32_e32 v24, v27, v53
	v_add_f32_e32 v25, v52, v28
	v_add_f32_e32 v26, v53, v27
	v_sub_f32_e32 v27, v28, v52
	v_sub_f32_e32 v28, v29, v55
	v_add_f32_e32 v29, v54, v32
	v_sub_f32_e32 v30, v36, v51
	v_add_f32_e32 v31, v50, v37
	v_add_f32_e32 v32, v57, v42
	v_sub_f32_e32 v33, v43, v56
	v_add_f32_e32 v34, v59, v60
	v_sub_f32_e32 v35, v61, v41
	v_sub_f32_e32 v36, v49, v40
	v_add_f32_e32 v37, v39, v58
	v_add_f32_e32 v38, v40, v49
	v_sub_f32_e32 v39, v58, v39
	v_sub_f32_e32 v40, v60, v59
	v_add_f32_e32 v41, v41, v61
	v_sub_f32_e32 v42, v42, v57
	v_add_f32_e32 v43, v56, v43
	ds_write2_b64 v85, v[16:17], v[20:21] offset1:17
	ds_write2_b64 v85, v[22:23], v[24:25] offset0:34 offset1:51
	ds_write2_b64 v85, v[26:27], v[28:29] offset0:68 offset1:85
	;; [unrolled: 1-line block ×6, first 2 shown]
	s_waitcnt lgkmcnt(0)
	s_barrier
	buffer_gl0_inv
	s_clause 0x6
	global_load_dwordx2 v[59:60], v[47:48], off offset:816
	global_load_dwordx2 v[51:52], v[47:48], off offset:952
	;; [unrolled: 1-line block ×7, first 2 shown]
	ds_read2_b64 v[20:23], v85 offset0:102 offset1:119
	ds_read2_b64 v[16:19], v85 offset0:136 offset1:153
	;; [unrolled: 1-line block ×4, first 2 shown]
	ds_read2_b64 v[62:65], v85 offset1:17
	ds_read2_b64 v[66:69], v85 offset0:34 offset1:51
	ds_read2_b64 v[70:73], v85 offset0:68 offset1:85
	v_add_nc_u32_e32 v61, v80, v84
	s_waitcnt vmcnt(6) lgkmcnt(6)
	v_mul_f32_e32 v32, v23, v60
	v_mul_f32_e32 v33, v22, v60
	s_waitcnt vmcnt(5) lgkmcnt(5)
	v_mul_f32_e32 v34, v17, v52
	v_mul_f32_e32 v35, v16, v52
	s_waitcnt vmcnt(4)
	v_mul_f32_e32 v36, v19, v54
	v_mul_f32_e32 v37, v18, v54
	s_waitcnt vmcnt(3) lgkmcnt(4)
	v_mul_f32_e32 v38, v25, v58
	v_mul_f32_e32 v40, v24, v58
	s_waitcnt vmcnt(2)
	;; [unrolled: 6-line block ×3, first 2 shown]
	v_mul_f32_e32 v43, v31, v48
	v_mul_f32_e32 v75, v30, v48
	v_fma_f32 v22, v22, v59, -v32
	v_fmac_f32_e32 v33, v23, v59
	v_fma_f32 v16, v16, v51, -v34
	v_fmac_f32_e32 v35, v17, v51
	;; [unrolled: 2-line block ×7, first 2 shown]
	s_waitcnt lgkmcnt(2)
	v_sub_f32_e32 v18, v62, v22
	v_sub_f32_e32 v19, v63, v33
	v_sub_f32_e32 v42, v64, v16
	v_sub_f32_e32 v43, v65, v35
	s_waitcnt lgkmcnt(1)
	v_sub_f32_e32 v38, v66, v17
	v_sub_f32_e32 v39, v67, v37
	v_sub_f32_e32 v34, v68, v23
	v_sub_f32_e32 v35, v69, v40
	;; [unrolled: 5-line block ×3, first 2 shown]
	v_sub_f32_e32 v22, v20, v28
	v_sub_f32_e32 v23, v21, v75
	v_fma_f32 v16, v62, 2.0, -v18
	v_fma_f32 v17, v63, 2.0, -v19
	;; [unrolled: 1-line block ×14, first 2 shown]
	ds_write2_b64 v86, v[18:19], v[42:43] offset0:119 offset1:136
	ds_write2_b64 v86, v[16:17], v[40:41] offset1:17
	ds_write_b64 v86, v[36:37] offset:272
	ds_write_b64 v61, v[38:39] offset:1224
	;; [unrolled: 1-line block ×10, first 2 shown]
	s_waitcnt lgkmcnt(0)
	s_barrier
	buffer_gl0_inv
	s_and_saveexec_b32 s2, vcc_lo
	s_cbranch_execz .LBB0_9
; %bb.8:
	s_add_u32 s0, s12, 0x770
	s_addc_u32 s1, s13, 0
	s_clause 0x10
	global_load_dwordx2 v[103:104], v80, s[12:13] offset:1904
	global_load_dwordx2 v[105:106], v80, s[0:1] offset:112
	;; [unrolled: 1-line block ×17, first 2 shown]
	ds_read2_b64 v[62:65], v86 offset1:14
	ds_read2_b64 v[66:69], v86 offset0:28 offset1:42
	ds_read2_b64 v[70:73], v86 offset0:56 offset1:70
	;; [unrolled: 1-line block ×7, first 2 shown]
	ds_read_b64 v[137:138], v86 offset:1792
	s_waitcnt vmcnt(16) lgkmcnt(8)
	v_mul_f32_e32 v139, v63, v104
	v_mul_f32_e32 v140, v62, v104
	s_waitcnt vmcnt(15)
	v_mul_f32_e32 v141, v65, v106
	v_mul_f32_e32 v104, v64, v106
	s_waitcnt vmcnt(14) lgkmcnt(7)
	v_mul_f32_e32 v142, v67, v108
	v_mul_f32_e32 v106, v66, v108
	s_waitcnt vmcnt(13)
	v_mul_f32_e32 v143, v69, v110
	v_mul_f32_e32 v108, v68, v110
	;; [unrolled: 6-line block ×8, first 2 shown]
	s_waitcnt vmcnt(0) lgkmcnt(0)
	v_mul_f32_e32 v134, v138, v136
	v_mul_f32_e32 v132, v137, v136
	v_fma_f32 v139, v62, v103, -v139
	v_fmac_f32_e32 v140, v63, v103
	v_fma_f32 v103, v64, v105, -v141
	v_fmac_f32_e32 v104, v65, v105
	;; [unrolled: 2-line block ×17, first 2 shown]
	ds_write2_b64 v86, v[139:140], v[103:104] offset1:14
	ds_write2_b64 v86, v[105:106], v[107:108] offset0:28 offset1:42
	ds_write2_b64 v86, v[109:110], v[111:112] offset0:56 offset1:70
	;; [unrolled: 1-line block ×7, first 2 shown]
	ds_write_b64 v86, v[131:132] offset:1792
.LBB0_9:
	s_or_b32 exec_lo, exec_lo, s2
	s_waitcnt lgkmcnt(0)
	s_barrier
	buffer_gl0_inv
	s_and_saveexec_b32 s0, vcc_lo
	s_cbranch_execz .LBB0_11
; %bb.10:
	ds_read2_b64 v[16:19], v86 offset1:14
	ds_read2_b64 v[40:43], v86 offset0:28 offset1:42
	ds_read2_b64 v[36:39], v86 offset0:56 offset1:70
	;; [unrolled: 1-line block ×7, first 2 shown]
	ds_read_b64 v[45:46], v86 offset:1792
.LBB0_11:
	s_or_b32 exec_lo, exec_lo, s0
	v_add_nc_u32_e32 v91, 0x110, v61
	v_add_nc_u32_e32 v90, 0x198, v61
	;; [unrolled: 1-line block ×5, first 2 shown]
	s_waitcnt lgkmcnt(0)
	s_barrier
	buffer_gl0_inv
	s_and_saveexec_b32 s0, vcc_lo
	s_cbranch_execz .LBB0_13
; %bb.12:
	v_sub_f32_e32 v97, v18, v45
	v_add_f32_e32 v122, v46, v19
	v_sub_f32_e32 v94, v40, v2
	v_add_f32_e32 v121, v3, v41
	v_sub_f32_e32 v92, v42, v0
	v_mul_f32_e32 v74, 0xbf763a35, v97
	v_add_f32_e32 v120, v1, v43
	v_mul_f32_e32 v78, 0x3f06c442, v94
	v_sub_f32_e32 v93, v36, v22
	v_mul_f32_e32 v124, 0x3f2c7751, v92
	v_fmamk_f32 v61, v122, 0xbe8c1d8e, v74
	v_add_f32_e32 v117, v23, v37
	v_fmamk_f32 v62, v121, 0xbf59a7d5, v78
	v_sub_f32_e32 v95, v38, v20
	v_mul_f32_e32 v127, 0xbf65296c, v93
	v_add_f32_e32 v61, v17, v61
	v_fmamk_f32 v63, v120, 0x3f3d2fb0, v124
	v_sub_f32_e32 v111, v19, v46
	v_add_f32_e32 v118, v21, v39
	v_sub_f32_e32 v96, v32, v26
	v_add_f32_e32 v61, v62, v61
	v_add_f32_e32 v100, v45, v18
	v_mul_f32_e32 v128, 0xbe3c28d5, v95
	v_fmamk_f32 v62, v117, 0x3ee437d1, v127
	v_sub_f32_e32 v108, v41, v3
	v_add_f32_e32 v61, v63, v61
	v_mul_f32_e32 v130, 0xbf763a35, v111
	v_add_f32_e32 v119, v27, v33
	v_mul_f32_e32 v129, 0x3f7ee86f, v96
	v_fmamk_f32 v63, v118, 0xbf7ba420, v128
	v_add_f32_e32 v61, v62, v61
	v_add_f32_e32 v101, v2, v40
	v_mul_f32_e32 v73, 0x3f06c442, v108
	v_fma_f32 v64, 0xbe8c1d8e, v100, -v130
	v_sub_f32_e32 v109, v43, v1
	v_fmamk_f32 v62, v119, 0x3dbcf732, v129
	v_add_f32_e32 v61, v63, v61
	v_fma_f32 v63, 0xbf59a7d5, v101, -v73
	v_add_f32_e32 v64, v16, v64
	v_add_f32_e32 v102, v0, v42
	v_mul_f32_e32 v76, 0x3f2c7751, v109
	v_sub_f32_e32 v110, v37, v23
	v_add_f32_e32 v61, v62, v61
	v_add_f32_e32 v62, v63, v64
	;; [unrolled: 1-line block ×3, first 2 shown]
	v_fma_f32 v63, 0x3f3d2fb0, v102, -v76
	v_mul_f32_e32 v77, 0xbf65296c, v110
	v_sub_f32_e32 v112, v39, v21
	v_sub_f32_e32 v98, v34, v24
	v_add_f32_e32 v104, v20, v38
	v_add_f32_e32 v62, v63, v62
	v_fma_f32 v63, 0x3ee437d1, v103, -v77
	v_mul_f32_e32 v126, 0xbe3c28d5, v112
	v_mul_f32_e32 v75, 0xbeb8f4ab, v98
	v_add_f32_e32 v115, v25, v35
	v_sub_f32_e32 v113, v33, v27
	v_add_f32_e32 v62, v63, v62
	v_fma_f32 v63, 0xbf7ba420, v104, -v126
	v_mul_f32_e32 v71, 0xbf4c4adb, v97
	v_fmamk_f32 v64, v115, 0x3f6eb680, v75
	v_sub_f32_e32 v99, v28, v30
	v_add_f32_e32 v106, v26, v32
	v_mul_f32_e32 v131, 0x3f7ee86f, v113
	v_add_f32_e32 v62, v63, v62
	v_sub_f32_e32 v114, v35, v25
	v_fmamk_f32 v63, v122, 0xbf1a4643, v71
	v_mul_f32_e32 v72, 0x3f763a35, v94
	v_add_f32_e32 v61, v64, v61
	v_mul_f32_e32 v125, 0xbf4c4adb, v99
	v_add_f32_e32 v116, v31, v29
	v_fma_f32 v64, 0x3dbcf732, v106, -v131
	v_add_f32_e32 v105, v24, v34
	v_mul_f32_e32 v132, 0xbeb8f4ab, v114
	v_add_f32_e32 v63, v17, v63
	v_fmamk_f32 v65, v121, 0xbe8c1d8e, v72
	v_mul_f32_e32 v133, 0xbeb8f4ab, v92
	v_fmamk_f32 v66, v116, 0xbf1a4643, v125
	v_add_f32_e32 v64, v64, v62
	v_fma_f32 v67, 0x3f6eb680, v105, -v132
	v_add_f32_e32 v63, v65, v63
	v_fmamk_f32 v65, v120, 0x3f6eb680, v133
	v_mul_f32_e32 v134, 0xbf06c442, v93
	v_add_f32_e32 v62, v66, v61
	v_add_f32_e32 v61, v67, v64
	v_mul_f32_e32 v135, 0x3f7ee86f, v95
	v_add_f32_e32 v63, v65, v63
	v_fmamk_f32 v64, v117, 0xbf59a7d5, v134
	v_mul_f32_e32 v136, 0xbf4c4adb, v111
	v_mul_f32_e32 v137, 0xbf2c7751, v96
	;; [unrolled: 1-line block ×4, first 2 shown]
	v_add_f32_e32 v63, v64, v63
	v_fmamk_f32 v64, v118, 0x3dbcf732, v135
	v_fma_f32 v65, 0xbf1a4643, v100, -v136
	v_fma_f32 v66, 0xbe8c1d8e, v101, -v139
	v_mul_f32_e32 v141, 0xbeb8f4ab, v109
	v_sub_f32_e32 v123, v29, v31
	v_add_f32_e32 v63, v64, v63
	v_fmamk_f32 v64, v119, 0x3f3d2fb0, v137
	v_add_f32_e32 v65, v16, v65
	v_mul_f32_e32 v142, 0xbf06c442, v110
	v_add_f32_e32 v107, v30, v28
	v_mul_f32_e32 v138, 0xbf4c4adb, v123
	v_add_f32_e32 v63, v64, v63
	v_fmamk_f32 v64, v115, 0xbf7ba420, v140
	v_add_f32_e32 v65, v66, v65
	v_fma_f32 v66, 0x3f6eb680, v102, -v141
	v_mul_f32_e32 v69, 0xbf06c442, v97
	v_mul_f32_e32 v143, 0x3f7ee86f, v112
	v_add_f32_e32 v63, v64, v63
	v_fma_f32 v67, 0xbf1a4643, v107, -v138
	v_add_f32_e32 v64, v66, v65
	v_fma_f32 v65, 0xbf59a7d5, v103, -v142
	v_fmamk_f32 v66, v122, 0xbf59a7d5, v69
	v_mul_f32_e32 v70, 0x3f65296c, v94
	v_mul_f32_e32 v145, 0xbf2c7751, v113
	v_add_f32_e32 v61, v67, v61
	v_add_f32_e32 v64, v65, v64
	v_fma_f32 v65, 0x3dbcf732, v104, -v143
	v_mul_f32_e32 v144, 0x3f65296c, v99
	v_add_f32_e32 v66, v17, v66
	v_fmamk_f32 v67, v121, 0x3ee437d1, v70
	v_mul_f32_e32 v146, 0xbf7ee86f, v92
	v_add_f32_e32 v64, v65, v64
	v_fma_f32 v65, 0x3f3d2fb0, v106, -v145
	v_mul_f32_e32 v147, 0xbe3c28d5, v114
	v_add_f32_e32 v66, v67, v66
	v_fmamk_f32 v67, v120, 0x3dbcf732, v146
	v_mul_f32_e32 v148, 0x3f4c4adb, v93
	v_fmamk_f32 v68, v116, 0x3ee437d1, v144
	v_add_f32_e32 v65, v65, v64
	v_fma_f32 v149, 0xbf7ba420, v105, -v147
	v_add_f32_e32 v66, v67, v66
	v_fmamk_f32 v67, v117, 0xbf1a4643, v148
	v_mul_f32_e32 v150, 0xbeb8f4ab, v95
	v_add_f32_e32 v64, v68, v63
	v_add_f32_e32 v63, v149, v65
	v_mul_f32_e32 v149, 0xbf06c442, v111
	v_add_f32_e32 v65, v67, v66
	v_fmamk_f32 v66, v118, 0x3f6eb680, v150
	v_mul_f32_e32 v151, 0xbe3c28d5, v96
	v_mul_f32_e32 v153, 0x3f65296c, v108
	v_fma_f32 v67, 0xbf59a7d5, v100, -v149
	v_mul_f32_e32 v152, 0x3f65296c, v123
	v_add_f32_e32 v65, v66, v65
	v_fmamk_f32 v66, v119, 0xbf7ba420, v151
	v_mul_f32_e32 v154, 0x3f2c7751, v98
	v_add_f32_e32 v67, v16, v67
	v_fma_f32 v68, 0x3ee437d1, v101, -v153
	v_mul_f32_e32 v155, 0xbf7ee86f, v109
	v_fma_f32 v156, 0x3ee437d1, v107, -v152
	v_add_f32_e32 v65, v66, v65
	v_fmamk_f32 v66, v115, 0x3f3d2fb0, v154
	v_add_f32_e32 v67, v68, v67
	v_fma_f32 v68, 0x3dbcf732, v102, -v155
	v_mul_f32_e32 v157, 0x3f4c4adb, v110
	v_add_f32_e32 v63, v156, v63
	v_add_f32_e32 v65, v66, v65
	v_mul_f32_e32 v156, 0xbe3c28d5, v97
	v_add_f32_e32 v66, v68, v67
	v_fma_f32 v67, 0xbf1a4643, v103, -v157
	v_mul_f32_e32 v158, 0xbeb8f4ab, v112
	v_mul_f32_e32 v160, 0x3eb8f4ab, v94
	v_fmamk_f32 v68, v122, 0xbf7ba420, v156
	v_mul_f32_e32 v161, 0xbe3c28d5, v113
	v_add_f32_e32 v66, v67, v66
	v_fma_f32 v67, 0x3f6eb680, v104, -v158
	v_mul_f32_e32 v159, 0xbf763a35, v99
	v_add_f32_e32 v68, v17, v68
	v_fmamk_f32 v162, v121, 0x3f6eb680, v160
	v_mul_f32_e32 v163, 0xbf06c442, v92
	v_add_f32_e32 v66, v67, v66
	v_fma_f32 v67, 0xbf7ba420, v106, -v161
	v_mul_f32_e32 v164, 0x3f2c7751, v114
	v_add_f32_e32 v68, v162, v68
	v_fmamk_f32 v162, v120, 0xbf59a7d5, v163
	v_mul_f32_e32 v165, 0x3f2c7751, v93
	v_fmamk_f32 v166, v116, 0xbe8c1d8e, v159
	v_add_f32_e32 v67, v67, v66
	v_fma_f32 v167, 0x3f3d2fb0, v105, -v164
	v_add_f32_e32 v68, v162, v68
	v_fmamk_f32 v162, v117, 0x3f3d2fb0, v165
	v_mul_f32_e32 v168, 0xbf4c4adb, v95
	v_add_f32_e32 v66, v166, v65
	v_add_f32_e32 v65, v167, v67
	v_mul_f32_e32 v67, 0xbe3c28d5, v111
	v_add_f32_e32 v68, v162, v68
	v_fmamk_f32 v162, v118, 0xbf1a4643, v168
	v_mul_f32_e32 v166, 0x3f65296c, v96
	v_mul_f32_e32 v170, 0x3eb8f4ab, v108
	v_fma_f32 v169, 0xbf7ba420, v100, -v67
	v_mul_f32_e32 v171, 0xbf763a35, v98
	v_add_f32_e32 v68, v162, v68
	v_fmamk_f32 v162, v119, 0x3ee437d1, v166
	v_fma_f32 v172, 0x3f6eb680, v101, -v170
	v_add_f32_e32 v169, v16, v169
	v_mul_f32_e32 v173, 0xbf06c442, v109
	v_mul_f32_e32 v175, 0x3f2c7751, v110
	v_add_f32_e32 v68, v162, v68
	v_fmamk_f32 v162, v115, 0xbe8c1d8e, v171
	v_add_f32_e32 v169, v172, v169
	v_fma_f32 v172, 0xbf59a7d5, v102, -v173
	v_fma_f32 v156, 0xbf7ba420, v122, -v156
	;; [unrolled: 1-line block ×3, first 2 shown]
	v_add_f32_e32 v68, v162, v68
	v_mul_f32_e32 v176, 0x3f65296c, v113
	v_add_f32_e32 v162, v172, v169
	v_fma_f32 v169, 0x3f3d2fb0, v103, -v175
	v_mul_f32_e32 v172, 0xbf4c4adb, v112
	v_add_f32_e32 v156, v17, v156
	v_fmac_f32_e32 v67, 0xbf7ba420, v100
	v_fmac_f32_e32 v170, 0x3f6eb680, v101
	v_add_f32_e32 v162, v169, v162
	v_fma_f32 v169, 0xbf1a4643, v104, -v172
	v_add_f32_e32 v156, v160, v156
	v_fma_f32 v160, 0xbf59a7d5, v120, -v163
	v_fma_f32 v163, 0x3ee437d1, v106, -v176
	;; [unrolled: 1-line block ×3, first 2 shown]
	v_add_f32_e32 v162, v169, v162
	v_mul_f32_e32 v169, 0xbf763a35, v114
	v_add_f32_e32 v156, v160, v156
	v_fma_f32 v160, 0x3f3d2fb0, v117, -v165
	v_mul_f32_e32 v165, 0x3f7ee86f, v123
	v_add_f32_e32 v162, v163, v162
	v_fma_f32 v163, 0xbe8c1d8e, v105, -v169
	v_fmac_f32_e32 v173, 0xbf59a7d5, v102
	v_add_f32_e32 v156, v160, v156
	v_fma_f32 v160, 0xbf1a4643, v118, -v168
	v_add_f32_e32 v168, v16, v67
	v_add_f32_e32 v162, v163, v162
	v_fma_f32 v163, 0x3dbcf732, v107, -v165
	v_add_f32_e32 v69, v17, v69
	v_fma_f32 v70, 0x3ee437d1, v121, -v70
	v_fmac_f32_e32 v175, 0x3f3d2fb0, v103
	v_fma_f32 v146, 0x3dbcf732, v120, -v146
	v_add_f32_e32 v67, v163, v162
	v_add_f32_e32 v162, v170, v168
	;; [unrolled: 1-line block ×3, first 2 shown]
	v_fmac_f32_e32 v172, 0xbf1a4643, v104
	v_fmac_f32_e32 v149, 0xbf59a7d5, v100
	;; [unrolled: 1-line block ×3, first 2 shown]
	v_add_f32_e32 v162, v173, v162
	v_add_f32_e32 v69, v146, v69
	v_fma_f32 v146, 0xbf1a4643, v117, -v148
	v_add_f32_e32 v149, v16, v149
	v_fmac_f32_e32 v153, 0x3ee437d1, v101
	v_add_f32_e32 v162, v175, v162
	v_fmac_f32_e32 v169, 0xbe8c1d8e, v105
	v_add_f32_e32 v69, v146, v69
	v_fma_f32 v146, 0x3f6eb680, v118, -v150
	v_add_f32_e32 v149, v153, v149
	v_add_f32_e32 v148, v172, v162
	v_fmac_f32_e32 v155, 0x3dbcf732, v102
	v_fmac_f32_e32 v165, 0x3dbcf732, v107
	v_add_f32_e32 v69, v146, v69
	v_fma_f32 v146, 0xbf7ba420, v119, -v151
	v_add_f32_e32 v148, v176, v148
	v_add_f32_e32 v149, v155, v149
	v_fmac_f32_e32 v157, 0xbf1a4643, v103
	v_fma_f32 v150, 0x3f3d2fb0, v115, -v154
	v_add_f32_e32 v146, v146, v69
	v_add_f32_e32 v148, v169, v148
	v_fma_f32 v71, 0xbf1a4643, v122, -v71
	v_fmac_f32_e32 v158, 0x3f6eb680, v104
	v_fmac_f32_e32 v161, 0xbf7ba420, v106
	v_add_f32_e32 v146, v150, v146
	v_add_f32_e32 v69, v165, v148
	v_add_f32_e32 v148, v157, v149
	v_fma_f32 v149, 0xbe8c1d8e, v116, -v159
	v_add_f32_e32 v71, v17, v71
	v_fma_f32 v150, 0xbe8c1d8e, v121, -v72
	v_fmac_f32_e32 v136, 0xbf1a4643, v100
	v_add_f32_e32 v148, v158, v148
	v_mul_f32_e32 v167, 0xbf763a35, v123
	v_add_f32_e32 v72, v149, v146
	v_add_f32_e32 v71, v150, v71
	v_fma_f32 v133, 0x3f6eb680, v120, -v133
	v_add_f32_e32 v146, v161, v148
	v_fmac_f32_e32 v164, 0x3f3d2fb0, v105
	v_add_f32_e32 v136, v16, v136
	v_fmac_f32_e32 v139, 0xbe8c1d8e, v101
	v_fma_f32 v174, 0xbe8c1d8e, v107, -v167
	v_add_f32_e32 v71, v133, v71
	v_fma_f32 v133, 0xbf59a7d5, v117, -v134
	v_add_f32_e32 v134, v164, v146
	v_fmac_f32_e32 v167, 0xbe8c1d8e, v107
	v_add_f32_e32 v136, v139, v136
	v_fmac_f32_e32 v141, 0x3f6eb680, v102
	v_fma_f32 v74, 0xbe8c1d8e, v122, -v74
	v_add_f32_e32 v133, v133, v71
	v_add_f32_e32 v71, v167, v134
	v_fmac_f32_e32 v142, 0xbf59a7d5, v103
	v_add_f32_e32 v134, v141, v136
	v_add_f32_e32 v74, v17, v74
	v_fma_f32 v78, 0xbf59a7d5, v121, -v78
	v_fmac_f32_e32 v143, 0x3dbcf732, v104
	v_fmac_f32_e32 v145, 0x3f3d2fb0, v106
	v_add_f32_e32 v134, v142, v134
	v_fma_f32 v127, 0x3ee437d1, v117, -v127
	v_add_f32_e32 v74, v78, v74
	v_fma_f32 v78, 0x3f3d2fb0, v120, -v124
	v_fmac_f32_e32 v147, 0xbf7ba420, v105
	v_add_f32_e32 v124, v143, v134
	v_fmac_f32_e32 v130, 0xbe8c1d8e, v100
	v_fmac_f32_e32 v73, 0xbf59a7d5, v101
	v_add_f32_e32 v78, v78, v74
	v_fmac_f32_e32 v152, 0x3ee437d1, v107
	v_add_f32_e32 v124, v145, v124
	v_fmac_f32_e32 v76, 0x3f3d2fb0, v102
	v_fma_f32 v135, 0x3dbcf732, v118, -v135
	v_add_f32_e32 v78, v127, v78
	v_fma_f32 v127, 0xbf7ba420, v118, -v128
	v_add_f32_e32 v124, v147, v124
	v_add_f32_e32 v128, v16, v130
	v_fmac_f32_e32 v77, 0x3ee437d1, v103
	v_fma_f32 v75, 0x3f6eb680, v115, -v75
	v_add_f32_e32 v78, v127, v78
	v_fma_f32 v127, 0x3dbcf732, v119, -v129
	v_mul_f32_e32 v129, 0x3dbcf732, v122
	v_add_f32_e32 v128, v73, v128
	v_add_f32_e32 v73, v152, v124
	v_mul_f32_e32 v130, 0xbe8c1d8e, v120
	v_add_f32_e32 v78, v127, v78
	v_fmamk_f32 v124, v97, 0x3f7ee86f, v129
	v_mul_f32_e32 v127, 0xbf7ba420, v121
	v_add_f32_e32 v76, v76, v128
	v_add_f32_e32 v133, v135, v133
	v_fma_f32 v135, 0x3f3d2fb0, v119, -v137
	v_add_f32_e32 v124, v17, v124
	v_fmamk_f32 v128, v94, 0x3e3c28d5, v127
	v_add_f32_e32 v76, v77, v76
	v_fmac_f32_e32 v126, 0xbf7ba420, v104
	v_add_f32_e32 v75, v75, v78
	v_fmamk_f32 v78, v92, 0xbf763a35, v130
	v_add_f32_e32 v77, v128, v124
	v_mul_f32_e32 v128, 0x3f6eb680, v117
	v_add_f32_e32 v133, v135, v133
	v_fma_f32 v135, 0xbf7ba420, v115, -v140
	v_add_f32_e32 v76, v126, v76
	v_fmac_f32_e32 v131, 0x3dbcf732, v106
	v_fma_f32 v124, 0xbf1a4643, v116, -v125
	v_add_f32_e32 v77, v78, v77
	v_fmamk_f32 v78, v93, 0xbeb8f4ab, v128
	v_mul_f32_e32 v126, 0x3ee437d1, v118
	v_add_f32_e32 v133, v135, v133
	v_fma_f32 v134, 0x3ee437d1, v116, -v144
	v_add_f32_e32 v125, v131, v76
	v_fmac_f32_e32 v132, 0x3f6eb680, v105
	v_add_f32_e32 v76, v124, v75
	v_add_f32_e32 v75, v78, v77
	v_fmamk_f32 v77, v95, 0x3f65296c, v126
	v_mul_f32_e32 v131, 0xbf59a7d5, v119
	v_add_f32_e32 v74, v134, v133
	v_add_f32_e32 v78, v132, v125
	v_fmac_f32_e32 v138, 0xbf1a4643, v107
	v_mul_f32_e32 v132, 0xbf7ee86f, v111
	v_add_f32_e32 v77, v77, v75
	v_fmamk_f32 v124, v96, 0x3f06c442, v131
	v_mul_f32_e32 v133, 0xbf1a4643, v115
	v_add_f32_e32 v75, v138, v78
	v_fmamk_f32 v78, v100, 0x3dbcf732, v132
	;; [unrolled: 3-line block ×17, first 2 shown]
	v_add_f32_e32 v156, v160, v156
	v_fma_f32 v160, 0x3ee437d1, v119, -v166
	v_add_f32_e32 v77, v125, v124
	v_add_f32_e32 v19, v19, v17
	;; [unrolled: 1-line block ×3, first 2 shown]
	v_fmamk_f32 v141, v98, 0x3f7ee86f, v151
	v_mul_f32_e32 v150, 0xbf59a7d5, v116
	v_add_f32_e32 v65, v174, v65
	v_mul_f32_e32 v174, 0x3f7ee86f, v99
	v_add_f32_e32 v156, v160, v156
	v_fma_f32 v160, 0xbe8c1d8e, v115, -v171
	v_add_f32_e32 v125, v141, v125
	v_fmamk_f32 v141, v99, 0x3f06c442, v150
	v_mul_f32_e32 v155, 0x3f3d2fb0, v122
	v_add_f32_e32 v19, v41, v19
	v_add_f32_e32 v156, v160, v156
	v_fma_f32 v160, 0x3dbcf732, v116, -v174
	v_add_f32_e32 v125, v141, v125
	v_fmamk_f32 v141, v97, 0x3f2c7751, v155
	v_mul_f32_e32 v157, 0x3dbcf732, v121
	v_add_f32_e32 v18, v18, v16
	v_add_f32_e32 v19, v43, v19
	;; [unrolled: 1-line block ×4, first 2 shown]
	v_fmamk_f32 v159, v94, 0x3f7ee86f, v157
	v_mul_f32_e32 v160, 0xbf1a4643, v120
	v_add_f32_e32 v18, v40, v18
	v_add_f32_e32 v19, v37, v19
	v_mul_f32_e32 v162, 0xbf7ba420, v117
	v_add_f32_e32 v141, v159, v141
	v_fmamk_f32 v159, v92, 0x3f4c4adb, v160
	v_add_f32_e32 v18, v42, v18
	v_add_f32_e32 v19, v39, v19
	v_mul_f32_e32 v164, 0xbf59a7d5, v118
	v_mul_f32_e32 v166, 0xbe8c1d8e, v119
	v_add_f32_e32 v141, v159, v141
	v_fmamk_f32 v159, v93, 0x3e3c28d5, v162
	v_add_f32_e32 v18, v36, v18
	v_add_f32_e32 v19, v33, v19
	v_mul_f32_e32 v168, 0x3ee437d1, v115
	;; [unrolled: 6-line block ×3, first 2 shown]
	v_fmac_f32_e32 v129, 0xbf7ee86f, v97
	v_add_f32_e32 v141, v159, v141
	v_fmamk_f32 v159, v96, 0xbf763a35, v166
	v_add_f32_e32 v18, v32, v18
	v_add_f32_e32 v19, v29, v19
	v_mul_f32_e32 v120, 0x3ee437d1, v120
	v_fmac_f32_e32 v127, 0xbe3c28d5, v94
	v_add_f32_e32 v141, v159, v141
	v_fmamk_f32 v159, v98, 0xbf65296c, v168
	v_add_f32_e32 v18, v34, v18
	v_add_f32_e32 v31, v31, v19
	v_mul_f32_e32 v117, 0x3dbcf732, v117
	;; [unrolled: 6-line block ×3, first 2 shown]
	v_fmac_f32_e32 v128, 0x3eb8f4ab, v93
	v_add_f32_e32 v122, v159, v141
	v_fmamk_f32 v141, v97, 0x3eb8f4ab, v173
	v_mul_f32_e32 v159, 0x3f3d2fb0, v121
	v_add_f32_e32 v18, v30, v18
	v_add_f32_e32 v25, v27, v25
	v_mul_f32_e32 v119, 0xbf1a4643, v119
	v_add_f32_e32 v141, v17, v141
	v_fmamk_f32 v175, v94, 0x3f2c7751, v159
	v_add_f32_e32 v18, v24, v18
	v_add_f32_e32 v24, v17, v129
	;; [unrolled: 1-line block ×3, first 2 shown]
	v_fmac_f32_e32 v126, 0xbf65296c, v95
	v_add_f32_e32 v141, v175, v141
	v_fmamk_f32 v175, v92, 0x3f65296c, v120
	v_add_f32_e32 v18, v26, v18
	v_add_f32_e32 v24, v127, v24
	;; [unrolled: 1-line block ×3, first 2 shown]
	v_mul_f32_e32 v149, 0xbf65296c, v111
	v_add_f32_e32 v141, v175, v141
	v_fmamk_f32 v175, v93, 0x3f7ee86f, v117
	v_add_f32_e32 v20, v20, v18
	v_add_f32_e32 v23, v130, v24
	;; [unrolled: 1-line block ×3, first 2 shown]
	v_fma_f32 v21, 0x3dbcf732, v100, -v132
	v_add_f32_e32 v141, v175, v141
	v_fmamk_f32 v175, v95, 0x3f763a35, v118
	v_add_f32_e32 v20, v22, v20
	v_add_f32_e32 v22, v128, v23
	;; [unrolled: 1-line block ×4, first 2 shown]
	v_fma_f32 v21, 0xbf7ba420, v101, -v134
	v_mul_f32_e32 v167, 0xbf2c7751, v111
	v_add_f32_e32 v141, v175, v141
	v_fmamk_f32 v175, v96, 0x3f4c4adb, v119
	v_mul_f32_e32 v111, 0xbeb8f4ab, v111
	v_add_f32_e32 v0, v0, v20
	v_add_f32_e32 v20, v126, v22
	v_fmac_f32_e32 v131, 0xbf06c442, v96
	v_add_f32_e32 v3, v21, v3
	v_fma_f32 v21, 0xbe8c1d8e, v102, -v136
	v_fmamk_f32 v124, v100, 0x3ee437d1, v149
	v_mul_f32_e32 v152, 0xbf4c4adb, v108
	v_add_f32_e32 v41, v175, v141
	v_fmamk_f32 v141, v100, 0x3f6eb680, v111
	v_mul_f32_e32 v40, 0xbf2c7751, v108
	v_add_f32_e32 v0, v2, v0
	v_add_f32_e32 v2, v131, v20
	;; [unrolled: 1-line block ×3, first 2 shown]
	v_fma_f32 v20, 0x3f6eb680, v103, -v139
	v_add_f32_e32 v124, v16, v124
	v_fmamk_f32 v153, v101, 0xbf1a4643, v152
	v_mul_f32_e32 v154, 0x3e3c28d5, v109
	v_mul_f32_e32 v169, 0xbf7ee86f, v108
	v_add_f32_e32 v108, v16, v141
	v_fmamk_f32 v37, v101, 0x3f3d2fb0, v40
	v_mul_f32_e32 v42, 0xbf65296c, v109
	v_add_f32_e32 v3, v20, v3
	v_fma_f32 v20, 0x3ee437d1, v104, -v138
	v_fma_f32 v22, 0x3ee437d1, v100, -v149
	v_add_f32_e32 v124, v153, v124
	v_fmamk_f32 v153, v102, 0xbf7ba420, v154
	v_mul_f32_e32 v156, 0x3f763a35, v110
	v_add_f32_e32 v36, v37, v108
	v_fmamk_f32 v37, v102, 0x3ee437d1, v42
	v_mul_f32_e32 v39, 0xbf7ee86f, v110
	v_fmac_f32_e32 v133, 0x3f4c4adb, v98
	v_add_f32_e32 v3, v20, v3
	v_fma_f32 v20, 0xbf59a7d5, v106, -v143
	v_add_f32_e32 v22, v16, v22
	v_fma_f32 v23, 0xbf1a4643, v101, -v152
	v_add_f32_e32 v124, v153, v124
	v_fmamk_f32 v153, v103, 0xbe8c1d8e, v156
	v_mul_f32_e32 v158, 0x3f2c7751, v112
	v_add_f32_e32 v36, v37, v36
	v_fmamk_f32 v37, v103, 0x3dbcf732, v39
	v_mul_f32_e32 v32, 0xbf763a35, v112
	v_add_f32_e32 v2, v133, v2
	v_fmac_f32_e32 v135, 0x3f2c7751, v99
	v_add_f32_e32 v20, v20, v3
	v_fma_f32 v24, 0xbf1a4643, v105, -v145
	v_add_f32_e32 v22, v23, v22
	v_fma_f32 v23, 0xbf7ba420, v102, -v154
	v_add_f32_e32 v124, v153, v124
	v_fmamk_f32 v153, v104, 0x3f3d2fb0, v158
	v_mul_f32_e32 v161, 0xbeb8f4ab, v113
	v_add_f32_e32 v36, v37, v36
	v_fmamk_f32 v29, v104, 0xbe8c1d8e, v32
	v_mul_f32_e32 v34, 0xbf4c4adb, v113
	v_add_f32_e32 v3, v135, v2
	v_add_f32_e32 v2, v24, v20
	v_add_f32_e32 v20, v23, v22
	v_fma_f32 v22, 0xbe8c1d8e, v103, -v156
	v_add_f32_e32 v124, v153, v124
	v_fmamk_f32 v153, v106, 0x3f6eb680, v161
	v_mul_f32_e32 v163, 0xbf7ee86f, v114
	v_add_f32_e32 v28, v29, v36
	v_fmamk_f32 v29, v106, 0xbf1a4643, v34
	v_fmac_f32_e32 v155, 0xbf2c7751, v97
	v_add_f32_e32 v20, v22, v20
	v_fma_f32 v22, 0x3f3d2fb0, v104, -v158
	v_add_f32_e32 v124, v153, v124
	v_fmamk_f32 v153, v105, 0x3dbcf732, v163
	v_mul_f32_e32 v165, 0xbf06c442, v123
	v_add_f32_e32 v28, v29, v28
	v_mul_f32_e32 v29, 0xbf06c442, v114
	v_fma_f32 v23, 0x3f3d2fb0, v107, -v147
	v_add_f32_e32 v24, v17, v155
	v_fmac_f32_e32 v157, 0xbf7ee86f, v94
	v_add_f32_e32 v20, v22, v20
	v_fma_f32 v22, 0x3f6eb680, v106, -v161
	v_add_f32_e32 v124, v153, v124
	v_fmamk_f32 v153, v107, 0xbf59a7d5, v165
	v_fmamk_f32 v27, v105, 0xbf59a7d5, v29
	v_mul_f32_e32 v30, 0xbe3c28d5, v123
	v_add_f32_e32 v2, v23, v2
	v_add_f32_e32 v23, v157, v24
	v_add_f32_e32 v20, v22, v20
	v_fma_f32 v22, 0x3dbcf732, v105, -v163
	v_fma_f32 v24, 0x3f3d2fb0, v100, -v167
	v_add_f32_e32 v124, v153, v124
	v_fmamk_f32 v153, v100, 0x3f3d2fb0, v167
	v_mul_f32_e32 v172, 0xbf4c4adb, v109
	v_add_f32_e32 v25, v27, v28
	v_fmamk_f32 v26, v107, 0xbf7ba420, v30
	v_add_f32_e32 v20, v22, v20
	v_add_f32_e32 v22, v16, v24
	v_fma_f32 v24, 0x3dbcf732, v101, -v169
	v_fmamk_f32 v177, v116, 0x3dbcf732, v174
	v_add_f32_e32 v153, v16, v153
	v_fmamk_f32 v171, v101, 0x3dbcf732, v169
	v_mul_f32_e32 v174, 0xbe3c28d5, v110
	v_add_f32_e32 v18, v26, v25
	v_fma_f32 v25, 0xbf59a7d5, v107, -v165
	v_add_f32_e32 v22, v24, v22
	v_fma_f32 v24, 0xbf1a4643, v102, -v172
	v_add_f32_e32 v153, v171, v153
	v_fmamk_f32 v171, v102, 0xbf1a4643, v172
	v_fmac_f32_e32 v137, 0xbf65296c, v97
	v_add_f32_e32 v20, v25, v20
	v_fmac_f32_e32 v173, 0xbeb8f4ab, v97
	v_add_f32_e32 v22, v24, v22
	v_fma_f32 v24, 0xbf7ba420, v103, -v174
	v_fma_f32 v25, 0x3f6eb680, v100, -v111
	v_add_f32_e32 v121, v171, v153
	v_mul_f32_e32 v171, 0x3f06c442, v112
	v_add_f32_e32 v21, v17, v137
	v_fmac_f32_e32 v140, 0xbf4c4adb, v94
	v_add_f32_e32 v17, v17, v173
	v_fmac_f32_e32 v159, 0xbf2c7751, v94
	v_add_f32_e32 v22, v24, v22
	v_add_f32_e32 v16, v16, v25
	v_fma_f32 v24, 0x3f3d2fb0, v101, -v40
	v_mul_f32_e32 v176, 0x3f763a35, v113
	v_add_f32_e32 v21, v140, v21
	v_fmac_f32_e32 v142, 0x3e3c28d5, v92
	v_fmac_f32_e32 v160, 0xbf4c4adb, v92
	v_fma_f32 v25, 0xbf59a7d5, v104, -v171
	v_add_f32_e32 v17, v159, v17
	v_fmac_f32_e32 v120, 0xbf65296c, v92
	v_add_f32_e32 v16, v24, v16
	v_fma_f32 v24, 0x3ee437d1, v102, -v42
	v_fmamk_f32 v153, v103, 0xbf7ba420, v174
	v_add_f32_e32 v68, v177, v68
	v_mul_f32_e32 v177, 0x3f65296c, v114
	v_add_f32_e32 v21, v142, v21
	v_fmac_f32_e32 v144, 0x3f763a35, v93
	v_add_f32_e32 v23, v160, v23
	v_fmac_f32_e32 v162, 0xbe3c28d5, v93
	v_add_f32_e32 v22, v25, v22
	v_add_f32_e32 v17, v120, v17
	v_fmac_f32_e32 v117, 0xbf7ee86f, v93
	v_fma_f32 v25, 0xbe8c1d8e, v106, -v176
	v_add_f32_e32 v16, v24, v16
	v_fma_f32 v24, 0x3dbcf732, v103, -v39
	v_add_f32_e32 v121, v153, v121
	v_fmamk_f32 v153, v104, 0xbf59a7d5, v171
	v_mul_f32_e32 v43, 0xbf59a7d5, v115
	v_add_f32_e32 v21, v144, v21
	v_fmac_f32_e32 v146, 0x3f2c7751, v95
	v_add_f32_e32 v23, v162, v23
	v_fmac_f32_e32 v164, 0x3f06c442, v95
	;; [unrolled: 2-line block ×3, first 2 shown]
	v_add_f32_e32 v22, v25, v22
	v_add_f32_e32 v16, v24, v16
	v_fma_f32 v24, 0xbe8c1d8e, v104, -v32
	v_fma_f32 v25, 0x3ee437d1, v105, -v177
	v_add_f32_e32 v121, v153, v121
	v_fmamk_f32 v153, v106, 0xbe8c1d8e, v176
	v_fmamk_f32 v109, v98, 0x3f06c442, v43
	v_mul_f32_e32 v35, 0xbf7ba420, v116
	v_add_f32_e32 v21, v146, v21
	v_fmac_f32_e32 v148, 0xbeb8f4ab, v96
	v_add_f32_e32 v23, v164, v23
	v_fmac_f32_e32 v166, 0x3f763a35, v96
	v_add_f32_e32 v17, v118, v17
	v_fmac_f32_e32 v119, 0xbf4c4adb, v96
	v_add_f32_e32 v16, v24, v16
	v_fma_f32 v24, 0xbf1a4643, v106, -v34
	v_add_f32_e32 v22, v25, v22
	v_mul_lo_u16 v25, v83, 17
	v_add_f32_e32 v121, v153, v121
	v_fmamk_f32 v153, v105, 0x3ee437d1, v177
	v_mul_f32_e32 v178, 0x3eb8f4ab, v123
	v_add_f32_e32 v33, v109, v41
	v_fmamk_f32 v37, v99, 0x3e3c28d5, v35
	v_add_f32_e32 v21, v148, v21
	v_fmac_f32_e32 v151, 0xbf7ee86f, v98
	v_add_f32_e32 v23, v166, v23
	v_fmac_f32_e32 v168, 0x3f65296c, v98
	;; [unrolled: 2-line block ×3, first 2 shown]
	v_add_f32_e32 v16, v24, v16
	v_fma_f32 v24, 0xbf59a7d5, v105, -v29
	v_and_b32_e32 v25, 0xffff, v25
	v_add_f32_e32 v121, v153, v121
	v_fmamk_f32 v153, v107, 0x3f6eb680, v178
	v_add_f32_e32 v19, v37, v33
	v_add_f32_e32 v1, v46, v1
	;; [unrolled: 1-line block ×4, first 2 shown]
	v_fmac_f32_e32 v150, 0xbf06c442, v99
	v_add_f32_e32 v23, v168, v23
	v_fmac_f32_e32 v170, 0x3eb8f4ab, v99
	v_fma_f32 v26, 0x3f6eb680, v107, -v178
	v_add_f32_e32 v27, v43, v17
	v_fmac_f32_e32 v35, 0xbe3c28d5, v99
	v_add_f32_e32 v24, v24, v16
	v_fma_f32 v28, 0xbf7ba420, v107, -v30
	v_lshl_add_u32 v25, v25, 3, v84
	v_add_f32_e32 v121, v153, v121
	v_add_f32_e32 v21, v150, v21
	;; [unrolled: 1-line block ×6, first 2 shown]
	ds_write2_b64 v25, v[0:1], v[18:19] offset1:1
	ds_write2_b64 v25, v[121:122], v[124:125] offset0:2 offset1:3
	ds_write2_b64 v25, v[77:78], v[75:76] offset0:4 offset1:5
	;; [unrolled: 1-line block ×7, first 2 shown]
	ds_write_b64 v25, v[22:23] offset:128
.LBB0_13:
	s_or_b32 exec_lo, exec_lo, s0
	s_waitcnt lgkmcnt(0)
	s_barrier
	buffer_gl0_inv
	ds_read2_b64 v[0:3], v85 offset0:34 offset1:51
	ds_read2_b64 v[16:19], v85 offset0:68 offset1:85
	;; [unrolled: 1-line block ×5, first 2 shown]
	ds_read2_b64 v[32:35], v85 offset1:17
	ds_read2_b64 v[36:39], v85 offset0:204 offset1:221
	s_waitcnt lgkmcnt(0)
	s_barrier
	buffer_gl0_inv
	v_mul_f32_e32 v40, v13, v1
	v_mul_f32_e32 v41, v13, v0
	;; [unrolled: 1-line block ×9, first 2 shown]
	v_fmac_f32_e32 v40, v12, v0
	v_fma_f32 v0, v12, v1, -v41
	v_fma_f32 v1, v14, v17, -v43
	v_fmac_f32_e32 v45, v8, v20
	v_fma_f32 v17, v10, v25, -v62
	v_mul_f32_e32 v20, v5, v28
	v_mul_f32_e32 v25, v13, v3
	;; [unrolled: 1-line block ×3, first 2 shown]
	v_fmac_f32_e32 v42, v14, v16
	v_fma_f32 v16, v8, v21, -v46
	v_fmac_f32_e32 v61, v10, v24
	v_fmac_f32_e32 v63, v4, v28
	v_mul_f32_e32 v21, v7, v37
	v_mul_f32_e32 v24, v7, v36
	v_fma_f32 v20, v4, v29, -v20
	v_fmac_f32_e32 v25, v12, v2
	v_fma_f32 v28, v12, v3, -v13
	v_mul_f32_e32 v29, v15, v19
	v_mul_f32_e32 v2, v15, v18
	;; [unrolled: 1-line block ×4, first 2 shown]
	v_fmac_f32_e32 v21, v6, v36
	v_fma_f32 v24, v6, v37, -v24
	v_mul_f32_e32 v36, v11, v27
	v_fmac_f32_e32 v29, v14, v18
	v_fma_f32 v14, v14, v19, -v2
	v_fmac_f32_e32 v15, v8, v22
	v_fma_f32 v18, v8, v23, -v3
	v_mul_f32_e32 v2, v11, v26
	v_mul_f32_e32 v19, v5, v31
	;; [unrolled: 1-line block ×5, first 2 shown]
	v_fmac_f32_e32 v36, v10, v26
	v_fma_f32 v23, v10, v27, -v2
	v_fma_f32 v26, v4, v31, -v3
	v_fmac_f32_e32 v22, v6, v38
	v_fma_f32 v27, v6, v39, -v5
	v_add_f32_e32 v2, v40, v21
	v_add_f32_e32 v3, v0, v24
	;; [unrolled: 1-line block ×4, first 2 shown]
	v_sub_f32_e32 v7, v42, v63
	v_sub_f32_e32 v1, v1, v20
	v_add_f32_e32 v8, v45, v61
	v_add_f32_e32 v9, v16, v17
	v_sub_f32_e32 v10, v61, v45
	v_sub_f32_e32 v11, v17, v16
	v_add_f32_e32 v12, v5, v2
	v_add_f32_e32 v13, v6, v3
	v_fmac_f32_e32 v19, v4, v30
	v_sub_f32_e32 v4, v40, v21
	v_sub_f32_e32 v0, v0, v24
	;; [unrolled: 1-line block ×8, first 2 shown]
	v_add_f32_e32 v20, v10, v7
	v_add_f32_e32 v21, v11, v1
	v_sub_f32_e32 v24, v10, v7
	v_sub_f32_e32 v30, v11, v1
	v_add_f32_e32 v8, v8, v12
	v_add_f32_e32 v9, v9, v13
	v_sub_f32_e32 v10, v4, v10
	v_sub_f32_e32 v11, v0, v11
	;; [unrolled: 1-line block ×4, first 2 shown]
	v_add_f32_e32 v4, v20, v4
	v_add_f32_e32 v13, v21, v0
	;; [unrolled: 1-line block ×4, first 2 shown]
	v_mul_f32_e32 v2, 0x3f4a47b2, v2
	v_mul_f32_e32 v3, 0x3f4a47b2, v3
	;; [unrolled: 1-line block ×8, first 2 shown]
	v_fmamk_f32 v8, v8, 0xbf955555, v0
	v_fmamk_f32 v9, v9, 0xbf955555, v1
	;; [unrolled: 1-line block ×4, first 2 shown]
	v_fma_f32 v20, 0x3f3bfb3b, v16, -v20
	v_fma_f32 v21, 0x3f3bfb3b, v17, -v21
	;; [unrolled: 1-line block ×4, first 2 shown]
	v_fmamk_f32 v16, v10, 0xbeae86e6, v24
	v_fmamk_f32 v17, v11, 0xbeae86e6, v30
	v_fma_f32 v24, 0xbf5ff5aa, v7, -v24
	v_fma_f32 v12, 0xbf5ff5aa, v12, -v30
	v_fma_f32 v30, 0x3eae86e6, v10, -v31
	v_fma_f32 v10, 0x3eae86e6, v11, -v32
	v_add_f32_e32 v31, v5, v8
	v_add_f32_e32 v32, v6, v9
	;; [unrolled: 1-line block ×4, first 2 shown]
	v_fmac_f32_e32 v16, 0xbee1c552, v4
	v_fmac_f32_e32 v17, 0xbee1c552, v13
	;; [unrolled: 1-line block ×4, first 2 shown]
	v_add_f32_e32 v21, v2, v8
	v_add_f32_e32 v33, v3, v9
	v_fmac_f32_e32 v10, 0xbee1c552, v13
	v_add_f32_e32 v2, v17, v31
	v_sub_f32_e32 v3, v32, v16
	v_sub_f32_e32 v6, v11, v12
	v_add_f32_e32 v7, v24, v20
	v_add_f32_e32 v8, v12, v11
	v_sub_f32_e32 v9, v20, v24
	v_sub_f32_e32 v12, v31, v17
	v_add_f32_e32 v13, v16, v32
	v_add_f32_e32 v16, v25, v22
	;; [unrolled: 1-line block ×3, first 2 shown]
	v_sub_f32_e32 v20, v25, v22
	v_add_f32_e32 v22, v29, v19
	v_add_f32_e32 v24, v14, v26
	v_fmac_f32_e32 v30, 0xbee1c552, v4
	v_add_f32_e32 v4, v10, v21
	v_sub_f32_e32 v10, v21, v10
	v_sub_f32_e32 v21, v28, v27
	;; [unrolled: 1-line block ×4, first 2 shown]
	v_add_f32_e32 v25, v15, v36
	v_add_f32_e32 v26, v18, v23
	v_sub_f32_e32 v15, v36, v15
	v_sub_f32_e32 v18, v23, v18
	v_add_f32_e32 v23, v22, v16
	v_add_f32_e32 v27, v24, v17
	v_sub_f32_e32 v5, v33, v30
	v_add_f32_e32 v11, v30, v33
	v_sub_f32_e32 v28, v22, v16
	v_sub_f32_e32 v29, v24, v17
	;; [unrolled: 1-line block ×6, first 2 shown]
	v_add_f32_e32 v30, v15, v19
	v_add_f32_e32 v31, v18, v14
	v_sub_f32_e32 v32, v15, v19
	v_sub_f32_e32 v33, v18, v14
	;; [unrolled: 1-line block ×3, first 2 shown]
	v_add_f32_e32 v23, v25, v23
	v_add_f32_e32 v25, v26, v27
	v_sub_f32_e32 v26, v14, v21
	v_sub_f32_e32 v36, v20, v15
	;; [unrolled: 1-line block ×3, first 2 shown]
	v_add_f32_e32 v20, v30, v20
	v_add_f32_e32 v21, v31, v21
	;; [unrolled: 1-line block ×4, first 2 shown]
	v_mul_f32_e32 v16, 0x3f4a47b2, v16
	v_mul_f32_e32 v17, 0x3f4a47b2, v17
	;; [unrolled: 1-line block ×8, first 2 shown]
	v_fmamk_f32 v23, v23, 0xbf955555, v14
	v_fmamk_f32 v25, v25, 0xbf955555, v15
	;; [unrolled: 1-line block ×4, first 2 shown]
	v_fma_f32 v27, 0x3f3bfb3b, v28, -v27
	v_fma_f32 v30, 0x3f3bfb3b, v29, -v30
	;; [unrolled: 1-line block ×4, first 2 shown]
	v_fmamk_f32 v28, v36, 0xbeae86e6, v31
	v_fmamk_f32 v29, v18, 0xbeae86e6, v32
	v_fma_f32 v26, 0xbf5ff5aa, v26, -v32
	v_fma_f32 v32, 0x3eae86e6, v36, -v33
	;; [unrolled: 1-line block ×4, first 2 shown]
	v_add_f32_e32 v34, v22, v23
	v_add_f32_e32 v35, v24, v25
	;; [unrolled: 1-line block ×6, first 2 shown]
	v_fmac_f32_e32 v28, 0xbee1c552, v20
	v_fmac_f32_e32 v29, 0xbee1c552, v21
	;; [unrolled: 1-line block ×6, first 2 shown]
	v_add_f32_e32 v16, v29, v34
	v_sub_f32_e32 v17, v35, v28
	v_add_f32_e32 v18, v33, v27
	v_sub_f32_e32 v19, v25, v32
	v_sub_f32_e32 v20, v22, v26
	v_add_f32_e32 v21, v31, v24
	v_add_f32_e32 v22, v26, v22
	v_sub_f32_e32 v23, v24, v31
	v_sub_f32_e32 v24, v27, v33
	v_add_f32_e32 v25, v32, v25
	v_sub_f32_e32 v26, v34, v29
	v_add_f32_e32 v27, v28, v35
	ds_write2_b64 v85, v[0:1], v[2:3] offset1:17
	ds_write2_b64 v85, v[4:5], v[6:7] offset0:34 offset1:51
	ds_write2_b64 v85, v[8:9], v[10:11] offset0:68 offset1:85
	;; [unrolled: 1-line block ×6, first 2 shown]
	s_waitcnt lgkmcnt(0)
	s_barrier
	buffer_gl0_inv
	ds_read2_b64 v[0:3], v85 offset0:102 offset1:119
	ds_read2_b64 v[4:7], v85 offset0:136 offset1:153
	;; [unrolled: 1-line block ×3, first 2 shown]
	ds_read2_b64 v[12:15], v85 offset1:17
	ds_read2_b64 v[16:19], v85 offset0:204 offset1:221
	ds_read2_b64 v[20:23], v85 offset0:34 offset1:51
	;; [unrolled: 1-line block ×3, first 2 shown]
	s_waitcnt lgkmcnt(6)
	v_mul_f32_e32 v28, v60, v3
	v_mul_f32_e32 v29, v60, v2
	s_waitcnt lgkmcnt(5)
	v_mul_f32_e32 v30, v52, v5
	s_waitcnt lgkmcnt(4)
	v_mul_f32_e32 v31, v58, v9
	v_mul_f32_e32 v33, v50, v11
	v_fmac_f32_e32 v28, v59, v2
	v_mul_f32_e32 v2, v52, v4
	v_fma_f32 v3, v59, v3, -v29
	v_fmac_f32_e32 v30, v51, v4
	v_mul_f32_e32 v29, v54, v7
	v_mul_f32_e32 v4, v54, v6
	v_fma_f32 v5, v51, v5, -v2
	v_mul_f32_e32 v2, v58, v8
	v_fmac_f32_e32 v31, v57, v8
	v_fmac_f32_e32 v29, v53, v6
	v_fma_f32 v32, v53, v7, -v4
	s_waitcnt lgkmcnt(2)
	v_mul_f32_e32 v35, v56, v17
	v_fma_f32 v34, v57, v9, -v2
	v_mul_f32_e32 v2, v50, v10
	v_mul_f32_e32 v4, v56, v16
	;; [unrolled: 1-line block ×4, first 2 shown]
	v_sub_f32_e32 v3, v13, v3
	v_fma_f32 v37, v49, v11, -v2
	v_sub_f32_e32 v2, v12, v28
	v_fmac_f32_e32 v33, v49, v10
	v_fmac_f32_e32 v35, v55, v16
	v_fma_f32 v38, v55, v17, -v4
	v_fmac_f32_e32 v36, v47, v18
	v_sub_f32_e32 v4, v14, v30
	v_fma_f32 v30, v47, v19, -v6
	v_sub_f32_e32 v5, v15, v5
	v_fma_f32 v6, v12, 2.0, -v2
	v_fma_f32 v7, v13, 2.0, -v3
	s_waitcnt lgkmcnt(1)
	v_sub_f32_e32 v12, v22, v31
	v_sub_f32_e32 v13, v23, v34
	;; [unrolled: 1-line block ×4, first 2 shown]
	v_fma_f32 v8, v14, 2.0, -v4
	v_fma_f32 v9, v15, 2.0, -v5
	s_waitcnt lgkmcnt(0)
	v_sub_f32_e32 v16, v24, v33
	v_fma_f32 v18, v22, 2.0, -v12
	v_fma_f32 v19, v23, 2.0, -v13
	v_sub_f32_e32 v17, v25, v37
	v_sub_f32_e32 v22, v26, v35
	v_sub_f32_e32 v23, v27, v38
	v_sub_f32_e32 v28, v0, v36
	v_sub_f32_e32 v29, v1, v30
	v_fma_f32 v14, v20, 2.0, -v10
	v_fma_f32 v15, v21, 2.0, -v11
	;; [unrolled: 1-line block ×8, first 2 shown]
	ds_write2_b64 v86, v[6:7], v[8:9] offset1:17
	ds_write2_b64 v86, v[2:3], v[4:5] offset0:119 offset1:136
	ds_write_b64 v86, v[14:15] offset:272
	ds_write_b64 v91, v[10:11] offset:952
	;; [unrolled: 1-line block ×10, first 2 shown]
	s_waitcnt lgkmcnt(0)
	s_barrier
	buffer_gl0_inv
	s_and_b32 exec_lo, exec_lo, vcc_lo
	s_cbranch_execz .LBB0_15
; %bb.14:
	global_load_dwordx2 v[0:1], v80, s[12:13]
	ds_read_b64 v[2:3], v86
	s_mov_b32 s0, 0x1135c811
	s_mov_b32 s1, 0x3f7135c8
	v_mad_u64_u32 v[6:7], null, s4, v83, 0
	v_lshl_add_u32 v11, v82, 3, v80
	s_mul_i32 s2, s5, 0x70
	s_mul_i32 s3, s4, 0x70
	s_waitcnt vmcnt(0) lgkmcnt(0)
	v_mul_f32_e32 v4, v3, v1
	v_mul_f32_e32 v1, v2, v1
	v_fmac_f32_e32 v4, v2, v0
	v_fma_f32 v2, v0, v3, -v1
	v_cvt_f64_f32_e32 v[0:1], v4
	v_cvt_f64_f32_e32 v[2:3], v2
	v_mad_u64_u32 v[4:5], null, s6, v44, 0
	s_mul_hi_u32 s6, s4, 0x70
	s_add_i32 s2, s6, s2
	v_mad_u64_u32 v[8:9], null, s7, v44, v[5:6]
	v_mad_u64_u32 v[9:10], null, s5, v83, v[7:8]
	v_mov_b32_e32 v5, v8
	v_mul_f64 v[0:1], v[0:1], s[0:1]
	v_mul_f64 v[2:3], v[2:3], s[0:1]
	v_mov_b32_e32 v7, v9
	v_cvt_f32_f64_e32 v0, v[0:1]
	v_cvt_f32_f64_e32 v1, v[2:3]
	v_lshlrev_b64 v[2:3], 3, v[4:5]
	v_lshlrev_b64 v[4:5], 3, v[6:7]
	v_add_co_u32 v9, vcc_lo, s14, v2
	v_add_co_ci_u32_e32 v10, vcc_lo, s15, v3, vcc_lo
	v_add_co_u32 v4, vcc_lo, v9, v4
	v_add_co_ci_u32_e32 v5, vcc_lo, v10, v5, vcc_lo
	global_store_dwordx2 v[4:5], v[0:1], off
	global_load_dwordx2 v[6:7], v80, s[12:13] offset:112
	ds_read2_b64 v[0:3], v11 offset0:14 offset1:28
	v_add_co_u32 v4, vcc_lo, v4, s3
	v_add_co_ci_u32_e32 v5, vcc_lo, s2, v5, vcc_lo
	s_waitcnt vmcnt(0) lgkmcnt(0)
	v_mul_f32_e32 v8, v1, v7
	v_mul_f32_e32 v7, v0, v7
	v_fmac_f32_e32 v8, v0, v6
	v_fma_f32 v6, v6, v1, -v7
	v_cvt_f64_f32_e32 v[0:1], v8
	v_cvt_f64_f32_e32 v[6:7], v6
	v_mul_f64 v[0:1], v[0:1], s[0:1]
	v_mul_f64 v[6:7], v[6:7], s[0:1]
	v_cvt_f32_f64_e32 v0, v[0:1]
	v_cvt_f32_f64_e32 v1, v[6:7]
	global_store_dwordx2 v[4:5], v[0:1], off
	global_load_dwordx2 v[0:1], v80, s[12:13] offset:224
	v_add_co_u32 v4, vcc_lo, v4, s3
	v_add_co_ci_u32_e32 v5, vcc_lo, s2, v5, vcc_lo
	s_waitcnt vmcnt(0)
	v_mul_f32_e32 v6, v3, v1
	v_mul_f32_e32 v1, v2, v1
	v_fmac_f32_e32 v6, v2, v0
	v_fma_f32 v2, v0, v3, -v1
	v_cvt_f64_f32_e32 v[0:1], v6
	v_cvt_f64_f32_e32 v[2:3], v2
	v_mul_f64 v[0:1], v[0:1], s[0:1]
	v_mul_f64 v[2:3], v[2:3], s[0:1]
	v_cvt_f32_f64_e32 v0, v[0:1]
	v_cvt_f32_f64_e32 v1, v[2:3]
	global_store_dwordx2 v[4:5], v[0:1], off
	global_load_dwordx2 v[6:7], v80, s[12:13] offset:336
	ds_read2_b64 v[0:3], v11 offset0:42 offset1:56
	v_add_co_u32 v4, vcc_lo, v4, s3
	v_add_co_ci_u32_e32 v5, vcc_lo, s2, v5, vcc_lo
	s_waitcnt vmcnt(0) lgkmcnt(0)
	v_mul_f32_e32 v8, v1, v7
	v_mul_f32_e32 v7, v0, v7
	v_fmac_f32_e32 v8, v0, v6
	v_fma_f32 v6, v6, v1, -v7
	v_cvt_f64_f32_e32 v[0:1], v8
	v_cvt_f64_f32_e32 v[6:7], v6
	v_mul_f64 v[0:1], v[0:1], s[0:1]
	v_mul_f64 v[6:7], v[6:7], s[0:1]
	v_cvt_f32_f64_e32 v0, v[0:1]
	v_cvt_f32_f64_e32 v1, v[6:7]
	global_store_dwordx2 v[4:5], v[0:1], off
	global_load_dwordx2 v[0:1], v80, s[12:13] offset:448
	v_add_co_u32 v4, vcc_lo, v4, s3
	v_add_co_ci_u32_e32 v5, vcc_lo, s2, v5, vcc_lo
	s_waitcnt vmcnt(0)
	v_mul_f32_e32 v6, v3, v1
	v_mul_f32_e32 v1, v2, v1
	v_fmac_f32_e32 v6, v2, v0
	v_fma_f32 v2, v0, v3, -v1
	v_cvt_f64_f32_e32 v[0:1], v6
	v_cvt_f64_f32_e32 v[2:3], v2
	v_mul_f64 v[0:1], v[0:1], s[0:1]
	v_mul_f64 v[2:3], v[2:3], s[0:1]
	v_cvt_f32_f64_e32 v0, v[0:1]
	v_cvt_f32_f64_e32 v1, v[2:3]
	;; [unrolled: 31-line block ×3, first 2 shown]
	global_store_dwordx2 v[4:5], v[0:1], off
	global_load_dwordx2 v[6:7], v80, s[12:13] offset:784
	ds_read2_b64 v[0:3], v11 offset0:98 offset1:112
	v_add_co_u32 v4, vcc_lo, v4, s3
	v_add_co_ci_u32_e32 v5, vcc_lo, s2, v5, vcc_lo
	s_waitcnt vmcnt(0) lgkmcnt(0)
	v_mul_f32_e32 v8, v1, v7
	v_mul_f32_e32 v7, v0, v7
	v_fmac_f32_e32 v8, v0, v6
	v_fma_f32 v6, v6, v1, -v7
	v_cvt_f64_f32_e32 v[0:1], v8
	v_cvt_f64_f32_e32 v[6:7], v6
	v_mul_f64 v[0:1], v[0:1], s[0:1]
	v_mul_f64 v[6:7], v[6:7], s[0:1]
	v_cvt_f32_f64_e32 v0, v[0:1]
	v_cvt_f32_f64_e32 v1, v[6:7]
	global_store_dwordx2 v[4:5], v[0:1], off
	global_load_dwordx2 v[0:1], v80, s[12:13] offset:896
	v_mad_u64_u32 v[4:5], null, 0xe0, s4, v[4:5]
	s_waitcnt vmcnt(0)
	v_mul_f32_e32 v6, v3, v1
	v_mul_f32_e32 v1, v2, v1
	v_fmac_f32_e32 v6, v2, v0
	v_fma_f32 v2, v0, v3, -v1
	v_cvt_f64_f32_e32 v[0:1], v6
	v_cvt_f64_f32_e32 v[2:3], v2
	v_mad_u64_u32 v[6:7], null, s4, v81, 0
	v_mad_u64_u32 v[7:8], null, s5, v81, v[7:8]
	v_mul_f64 v[0:1], v[0:1], s[0:1]
	v_mul_f64 v[2:3], v[2:3], s[0:1]
	v_cvt_f32_f64_e32 v0, v[0:1]
	v_cvt_f32_f64_e32 v1, v[2:3]
	v_lshlrev_b64 v[2:3], 3, v[6:7]
	v_add_co_u32 v2, vcc_lo, v9, v2
	v_add_co_ci_u32_e32 v3, vcc_lo, v10, v3, vcc_lo
	global_store_dwordx2 v[2:3], v[0:1], off
	global_load_dwordx2 v[6:7], v80, s[12:13] offset:1008
	ds_read2_b64 v[0:3], v11 offset0:126 offset1:140
	s_waitcnt vmcnt(0) lgkmcnt(0)
	v_mul_f32_e32 v8, v1, v7
	v_mul_f32_e32 v7, v0, v7
	v_fmac_f32_e32 v8, v0, v6
	v_fma_f32 v6, v6, v1, -v7
	v_cvt_f64_f32_e32 v[0:1], v8
	v_cvt_f64_f32_e32 v[6:7], v6
	v_mul_f64 v[0:1], v[0:1], s[0:1]
	v_mul_f64 v[6:7], v[6:7], s[0:1]
	v_cvt_f32_f64_e32 v0, v[0:1]
	v_cvt_f32_f64_e32 v1, v[6:7]
	v_mad_u64_u32 v[5:6], null, 0xe0, s5, v[5:6]
	global_store_dwordx2 v[4:5], v[0:1], off
	global_load_dwordx2 v[0:1], v80, s[12:13] offset:1120
	v_add_co_u32 v4, vcc_lo, v4, s3
	v_add_co_ci_u32_e32 v5, vcc_lo, s2, v5, vcc_lo
	s_waitcnt vmcnt(0)
	v_mul_f32_e32 v6, v3, v1
	v_mul_f32_e32 v1, v2, v1
	v_fmac_f32_e32 v6, v2, v0
	v_fma_f32 v2, v0, v3, -v1
	v_cvt_f64_f32_e32 v[0:1], v6
	v_cvt_f64_f32_e32 v[2:3], v2
	v_mul_f64 v[0:1], v[0:1], s[0:1]
	v_mul_f64 v[2:3], v[2:3], s[0:1]
	v_cvt_f32_f64_e32 v0, v[0:1]
	v_cvt_f32_f64_e32 v1, v[2:3]
	global_store_dwordx2 v[4:5], v[0:1], off
	global_load_dwordx2 v[6:7], v80, s[12:13] offset:1232
	ds_read2_b64 v[0:3], v11 offset0:154 offset1:168
	v_add_co_u32 v4, vcc_lo, v4, s3
	v_add_co_ci_u32_e32 v5, vcc_lo, s2, v5, vcc_lo
	s_waitcnt vmcnt(0) lgkmcnt(0)
	v_mul_f32_e32 v8, v1, v7
	v_mul_f32_e32 v7, v0, v7
	v_fmac_f32_e32 v8, v0, v6
	v_fma_f32 v6, v6, v1, -v7
	v_cvt_f64_f32_e32 v[0:1], v8
	v_cvt_f64_f32_e32 v[6:7], v6
	v_mul_f64 v[0:1], v[0:1], s[0:1]
	v_mul_f64 v[6:7], v[6:7], s[0:1]
	v_cvt_f32_f64_e32 v0, v[0:1]
	v_cvt_f32_f64_e32 v1, v[6:7]
	global_store_dwordx2 v[4:5], v[0:1], off
	global_load_dwordx2 v[0:1], v80, s[12:13] offset:1344
	v_add_co_u32 v4, vcc_lo, v4, s3
	v_add_co_ci_u32_e32 v5, vcc_lo, s2, v5, vcc_lo
	s_waitcnt vmcnt(0)
	v_mul_f32_e32 v6, v3, v1
	v_mul_f32_e32 v1, v2, v1
	v_fmac_f32_e32 v6, v2, v0
	v_fma_f32 v2, v0, v3, -v1
	v_cvt_f64_f32_e32 v[0:1], v6
	v_cvt_f64_f32_e32 v[2:3], v2
	v_mul_f64 v[0:1], v[0:1], s[0:1]
	v_mul_f64 v[2:3], v[2:3], s[0:1]
	v_cvt_f32_f64_e32 v0, v[0:1]
	v_cvt_f32_f64_e32 v1, v[2:3]
	global_store_dwordx2 v[4:5], v[0:1], off
	global_load_dwordx2 v[6:7], v80, s[12:13] offset:1456
	ds_read2_b64 v[0:3], v11 offset0:182 offset1:196
	v_add_co_u32 v4, vcc_lo, v4, s3
	v_add_co_ci_u32_e32 v5, vcc_lo, s2, v5, vcc_lo
	s_waitcnt vmcnt(0) lgkmcnt(0)
	v_mul_f32_e32 v8, v1, v7
	v_mul_f32_e32 v7, v0, v7
	v_fmac_f32_e32 v8, v0, v6
	v_fma_f32 v6, v6, v1, -v7
	v_cvt_f64_f32_e32 v[0:1], v8
	v_cvt_f64_f32_e32 v[6:7], v6
	v_mul_f64 v[0:1], v[0:1], s[0:1]
	v_mul_f64 v[6:7], v[6:7], s[0:1]
	v_cvt_f32_f64_e32 v0, v[0:1]
	v_cvt_f32_f64_e32 v1, v[6:7]
	;; [unrolled: 31-line block ×3, first 2 shown]
	global_store_dwordx2 v[4:5], v[0:1], off
	global_load_dwordx2 v[0:1], v80, s[12:13] offset:1792
	s_waitcnt vmcnt(0)
	v_mul_f32_e32 v4, v3, v1
	v_mul_f32_e32 v1, v2, v1
	v_fmac_f32_e32 v4, v2, v0
	v_fma_f32 v2, v0, v3, -v1
	v_cvt_f64_f32_e32 v[0:1], v4
	v_cvt_f64_f32_e32 v[2:3], v2
	v_mad_u64_u32 v[4:5], null, s4, v79, 0
	v_mad_u64_u32 v[5:6], null, s5, v79, v[5:6]
	v_mul_f64 v[0:1], v[0:1], s[0:1]
	v_mul_f64 v[2:3], v[2:3], s[0:1]
	v_cvt_f32_f64_e32 v0, v[0:1]
	v_cvt_f32_f64_e32 v1, v[2:3]
	v_lshlrev_b64 v[2:3], 3, v[4:5]
	v_add_co_u32 v2, vcc_lo, v9, v2
	v_add_co_ci_u32_e32 v3, vcc_lo, v10, v3, vcc_lo
	global_store_dwordx2 v[2:3], v[0:1], off
.LBB0_15:
	s_endpgm
	.section	.rodata,"a",@progbits
	.p2align	6, 0x0
	.amdhsa_kernel bluestein_single_back_len238_dim1_sp_op_CI_CI
		.amdhsa_group_segment_fixed_size 5712
		.amdhsa_private_segment_fixed_size 0
		.amdhsa_kernarg_size 104
		.amdhsa_user_sgpr_count 6
		.amdhsa_user_sgpr_private_segment_buffer 1
		.amdhsa_user_sgpr_dispatch_ptr 0
		.amdhsa_user_sgpr_queue_ptr 0
		.amdhsa_user_sgpr_kernarg_segment_ptr 1
		.amdhsa_user_sgpr_dispatch_id 0
		.amdhsa_user_sgpr_flat_scratch_init 0
		.amdhsa_user_sgpr_private_segment_size 0
		.amdhsa_wavefront_size32 1
		.amdhsa_uses_dynamic_stack 0
		.amdhsa_system_sgpr_private_segment_wavefront_offset 0
		.amdhsa_system_sgpr_workgroup_id_x 1
		.amdhsa_system_sgpr_workgroup_id_y 0
		.amdhsa_system_sgpr_workgroup_id_z 0
		.amdhsa_system_sgpr_workgroup_info 0
		.amdhsa_system_vgpr_workitem_id 0
		.amdhsa_next_free_vgpr 199
		.amdhsa_next_free_sgpr 16
		.amdhsa_reserve_vcc 1
		.amdhsa_reserve_flat_scratch 0
		.amdhsa_float_round_mode_32 0
		.amdhsa_float_round_mode_16_64 0
		.amdhsa_float_denorm_mode_32 3
		.amdhsa_float_denorm_mode_16_64 3
		.amdhsa_dx10_clamp 1
		.amdhsa_ieee_mode 1
		.amdhsa_fp16_overflow 0
		.amdhsa_workgroup_processor_mode 1
		.amdhsa_memory_ordered 1
		.amdhsa_forward_progress 0
		.amdhsa_shared_vgpr_count 0
		.amdhsa_exception_fp_ieee_invalid_op 0
		.amdhsa_exception_fp_denorm_src 0
		.amdhsa_exception_fp_ieee_div_zero 0
		.amdhsa_exception_fp_ieee_overflow 0
		.amdhsa_exception_fp_ieee_underflow 0
		.amdhsa_exception_fp_ieee_inexact 0
		.amdhsa_exception_int_div_zero 0
	.end_amdhsa_kernel
	.text
.Lfunc_end0:
	.size	bluestein_single_back_len238_dim1_sp_op_CI_CI, .Lfunc_end0-bluestein_single_back_len238_dim1_sp_op_CI_CI
                                        ; -- End function
	.section	.AMDGPU.csdata,"",@progbits
; Kernel info:
; codeLenInByte = 17776
; NumSgprs: 18
; NumVgprs: 199
; ScratchSize: 0
; MemoryBound: 0
; FloatMode: 240
; IeeeMode: 1
; LDSByteSize: 5712 bytes/workgroup (compile time only)
; SGPRBlocks: 2
; VGPRBlocks: 24
; NumSGPRsForWavesPerEU: 18
; NumVGPRsForWavesPerEU: 199
; Occupancy: 4
; WaveLimiterHint : 1
; COMPUTE_PGM_RSRC2:SCRATCH_EN: 0
; COMPUTE_PGM_RSRC2:USER_SGPR: 6
; COMPUTE_PGM_RSRC2:TRAP_HANDLER: 0
; COMPUTE_PGM_RSRC2:TGID_X_EN: 1
; COMPUTE_PGM_RSRC2:TGID_Y_EN: 0
; COMPUTE_PGM_RSRC2:TGID_Z_EN: 0
; COMPUTE_PGM_RSRC2:TIDIG_COMP_CNT: 0
	.text
	.p2alignl 6, 3214868480
	.fill 48, 4, 3214868480
	.type	__hip_cuid_dd6411af0014367f,@object ; @__hip_cuid_dd6411af0014367f
	.section	.bss,"aw",@nobits
	.globl	__hip_cuid_dd6411af0014367f
__hip_cuid_dd6411af0014367f:
	.byte	0                               ; 0x0
	.size	__hip_cuid_dd6411af0014367f, 1

	.ident	"AMD clang version 19.0.0git (https://github.com/RadeonOpenCompute/llvm-project roc-6.4.0 25133 c7fe45cf4b819c5991fe208aaa96edf142730f1d)"
	.section	".note.GNU-stack","",@progbits
	.addrsig
	.addrsig_sym __hip_cuid_dd6411af0014367f
	.amdgpu_metadata
---
amdhsa.kernels:
  - .args:
      - .actual_access:  read_only
        .address_space:  global
        .offset:         0
        .size:           8
        .value_kind:     global_buffer
      - .actual_access:  read_only
        .address_space:  global
        .offset:         8
        .size:           8
        .value_kind:     global_buffer
      - .actual_access:  read_only
        .address_space:  global
        .offset:         16
        .size:           8
        .value_kind:     global_buffer
      - .actual_access:  read_only
        .address_space:  global
        .offset:         24
        .size:           8
        .value_kind:     global_buffer
      - .actual_access:  read_only
        .address_space:  global
        .offset:         32
        .size:           8
        .value_kind:     global_buffer
      - .offset:         40
        .size:           8
        .value_kind:     by_value
      - .address_space:  global
        .offset:         48
        .size:           8
        .value_kind:     global_buffer
      - .address_space:  global
        .offset:         56
        .size:           8
        .value_kind:     global_buffer
      - .address_space:  global
        .offset:         64
        .size:           8
        .value_kind:     global_buffer
      - .address_space:  global
        .offset:         72
        .size:           8
        .value_kind:     global_buffer
      - .offset:         80
        .size:           4
        .value_kind:     by_value
      - .address_space:  global
        .offset:         88
        .size:           8
        .value_kind:     global_buffer
      - .address_space:  global
        .offset:         96
        .size:           8
        .value_kind:     global_buffer
    .group_segment_fixed_size: 5712
    .kernarg_segment_align: 8
    .kernarg_segment_size: 104
    .language:       OpenCL C
    .language_version:
      - 2
      - 0
    .max_flat_workgroup_size: 51
    .name:           bluestein_single_back_len238_dim1_sp_op_CI_CI
    .private_segment_fixed_size: 0
    .sgpr_count:     18
    .sgpr_spill_count: 0
    .symbol:         bluestein_single_back_len238_dim1_sp_op_CI_CI.kd
    .uniform_work_group_size: 1
    .uses_dynamic_stack: false
    .vgpr_count:     199
    .vgpr_spill_count: 0
    .wavefront_size: 32
    .workgroup_processor_mode: 1
amdhsa.target:   amdgcn-amd-amdhsa--gfx1030
amdhsa.version:
  - 1
  - 2
...

	.end_amdgpu_metadata
